;; amdgpu-corpus repo=ROCm/rocFFT kind=compiled arch=gfx906 opt=O3
	.amdgcn_target "amdgcn-amd-amdhsa--gfx906"
	.amdhsa_code_object_version 6
	.text
	.protected	_Z10initrdata1Pdmm      ; -- Begin function _Z10initrdata1Pdmm
	.globl	_Z10initrdata1Pdmm
	.p2align	8
	.type	_Z10initrdata1Pdmm,@function
_Z10initrdata1Pdmm:                     ; @_Z10initrdata1Pdmm
; %bb.0:
	s_load_dword s7, s[4:5], 0x24
	s_load_dwordx4 s[0:3], s[4:5], 0x0
	v_mov_b32_e32 v1, 0
	s_waitcnt lgkmcnt(0)
	s_and_b32 s7, s7, 0xffff
	s_mul_i32 s6, s6, s7
	v_add_u32_e32 v0, s6, v0
	v_cmp_gt_u64_e32 vcc, s[2:3], v[0:1]
	s_and_saveexec_b64 s[2:3], vcc
	s_cbranch_execz .LBB0_2
; %bb.1:
	v_add_co_u32_e32 v5, vcc, 1, v0
	s_load_dwordx2 s[2:3], s[4:5], 0x10
	v_addc_co_u32_e64 v1, s[4:5], 0, 0, vcc
	v_cvt_f64_u32_e32 v[1:2], v1
	v_cvt_f64_u32_e32 v[5:6], v5
	s_waitcnt lgkmcnt(0)
	v_mad_u64_u32 v[3:4], s[4:5], s2, v0, 0
	v_ldexp_f64 v[1:2], v[1:2], 32
	v_mad_u64_u32 v[7:8], s[2:3], s3, v0, v[4:5]
	v_mov_b32_e32 v4, v7
	v_add_f64 v[0:1], v[1:2], v[5:6]
	v_lshlrev_b64 v[2:3], 3, v[3:4]
	v_mov_b32_e32 v4, s1
	v_add_co_u32_e32 v2, vcc, s0, v2
	v_addc_co_u32_e32 v3, vcc, v4, v3, vcc
	global_store_dwordx2 v[2:3], v[0:1], off
.LBB0_2:
	s_endpgm
	.section	.rodata,"a",@progbits
	.p2align	6, 0x0
	.amdhsa_kernel _Z10initrdata1Pdmm
		.amdhsa_group_segment_fixed_size 0
		.amdhsa_private_segment_fixed_size 0
		.amdhsa_kernarg_size 280
		.amdhsa_user_sgpr_count 6
		.amdhsa_user_sgpr_private_segment_buffer 1
		.amdhsa_user_sgpr_dispatch_ptr 0
		.amdhsa_user_sgpr_queue_ptr 0
		.amdhsa_user_sgpr_kernarg_segment_ptr 1
		.amdhsa_user_sgpr_dispatch_id 0
		.amdhsa_user_sgpr_flat_scratch_init 0
		.amdhsa_user_sgpr_private_segment_size 0
		.amdhsa_uses_dynamic_stack 0
		.amdhsa_system_sgpr_private_segment_wavefront_offset 0
		.amdhsa_system_sgpr_workgroup_id_x 1
		.amdhsa_system_sgpr_workgroup_id_y 0
		.amdhsa_system_sgpr_workgroup_id_z 0
		.amdhsa_system_sgpr_workgroup_info 0
		.amdhsa_system_vgpr_workitem_id 0
		.amdhsa_next_free_vgpr 9
		.amdhsa_next_free_sgpr 8
		.amdhsa_reserve_vcc 1
		.amdhsa_reserve_flat_scratch 0
		.amdhsa_float_round_mode_32 0
		.amdhsa_float_round_mode_16_64 0
		.amdhsa_float_denorm_mode_32 3
		.amdhsa_float_denorm_mode_16_64 3
		.amdhsa_dx10_clamp 1
		.amdhsa_ieee_mode 1
		.amdhsa_fp16_overflow 0
		.amdhsa_exception_fp_ieee_invalid_op 0
		.amdhsa_exception_fp_denorm_src 0
		.amdhsa_exception_fp_ieee_div_zero 0
		.amdhsa_exception_fp_ieee_overflow 0
		.amdhsa_exception_fp_ieee_underflow 0
		.amdhsa_exception_fp_ieee_inexact 0
		.amdhsa_exception_int_div_zero 0
	.end_amdhsa_kernel
	.text
.Lfunc_end0:
	.size	_Z10initrdata1Pdmm, .Lfunc_end0-_Z10initrdata1Pdmm
                                        ; -- End function
	.set _Z10initrdata1Pdmm.num_vgpr, 9
	.set _Z10initrdata1Pdmm.num_agpr, 0
	.set _Z10initrdata1Pdmm.numbered_sgpr, 8
	.set _Z10initrdata1Pdmm.num_named_barrier, 0
	.set _Z10initrdata1Pdmm.private_seg_size, 0
	.set _Z10initrdata1Pdmm.uses_vcc, 1
	.set _Z10initrdata1Pdmm.uses_flat_scratch, 0
	.set _Z10initrdata1Pdmm.has_dyn_sized_stack, 0
	.set _Z10initrdata1Pdmm.has_recursion, 0
	.set _Z10initrdata1Pdmm.has_indirect_call, 0
	.section	.AMDGPU.csdata,"",@progbits
; Kernel info:
; codeLenInByte = 152
; TotalNumSgprs: 12
; NumVgprs: 9
; ScratchSize: 0
; MemoryBound: 0
; FloatMode: 240
; IeeeMode: 1
; LDSByteSize: 0 bytes/workgroup (compile time only)
; SGPRBlocks: 1
; VGPRBlocks: 2
; NumSGPRsForWavesPerEU: 12
; NumVGPRsForWavesPerEU: 9
; Occupancy: 10
; WaveLimiterHint : 0
; COMPUTE_PGM_RSRC2:SCRATCH_EN: 0
; COMPUTE_PGM_RSRC2:USER_SGPR: 6
; COMPUTE_PGM_RSRC2:TRAP_HANDLER: 0
; COMPUTE_PGM_RSRC2:TGID_X_EN: 1
; COMPUTE_PGM_RSRC2:TGID_Y_EN: 0
; COMPUTE_PGM_RSRC2:TGID_Z_EN: 0
; COMPUTE_PGM_RSRC2:TIDIG_COMP_CNT: 0
	.text
	.protected	_Z10initrdata2Pdmmmm    ; -- Begin function _Z10initrdata2Pdmmmm
	.globl	_Z10initrdata2Pdmmmm
	.p2align	8
	.type	_Z10initrdata2Pdmmmm,@function
_Z10initrdata2Pdmmmm:                   ; @_Z10initrdata2Pdmmmm
; %bb.0:
	s_load_dword s0, s[4:5], 0x34
	s_load_dwordx8 s[8:15], s[4:5], 0x0
	v_mov_b32_e32 v3, 0
	s_waitcnt lgkmcnt(0)
	s_lshr_b32 s1, s0, 16
	s_and_b32 s0, s0, 0xffff
	s_mul_i32 s6, s6, s0
	s_mul_i32 s7, s7, s1
	v_add_u32_e32 v2, s6, v0
	v_add_u32_e32 v0, s7, v1
	v_mov_b32_e32 v1, v3
	v_cmp_gt_u64_e32 vcc, s[10:11], v[2:3]
	v_cmp_gt_u64_e64 s[0:1], s[12:13], v[0:1]
	s_and_b64 s[0:1], vcc, s[0:1]
	s_and_saveexec_b64 s[2:3], s[0:1]
	s_cbranch_execz .LBB1_2
; %bb.1:
	v_mad_u64_u32 v[3:4], s[0:1], s14, v2, 0
	s_load_dwordx2 s[0:1], s[4:5], 0x20
	v_add_co_u32_e32 v12, vcc, v0, v2
	v_mov_b32_e32 v1, v4
	v_addc_co_u32_e64 v4, s[2:3], 0, 0, vcc
	v_cvt_f64_u32_e32 v[4:5], v4
	s_waitcnt lgkmcnt(0)
	v_mad_u64_u32 v[6:7], s[2:3], s0, v0, 0
	v_mad_u64_u32 v[1:2], s[2:3], s15, v2, v[1:2]
	v_ldexp_f64 v[8:9], v[4:5], 32
	v_mov_b32_e32 v2, v7
	v_mad_u64_u32 v[10:11], s[0:1], s1, v0, v[2:3]
	v_cvt_f64_u32_e32 v[11:12], v12
	v_mov_b32_e32 v4, v1
	v_lshlrev_b64 v[2:3], 3, v[3:4]
	v_mov_b32_e32 v7, v10
	v_add_f64 v[0:1], v[8:9], v[11:12]
	v_mov_b32_e32 v4, s9
	v_add_co_u32_e32 v5, vcc, s8, v2
	v_addc_co_u32_e32 v4, vcc, v4, v3, vcc
	v_lshlrev_b64 v[2:3], 3, v[6:7]
	v_add_co_u32_e32 v2, vcc, v5, v2
	v_addc_co_u32_e32 v3, vcc, v4, v3, vcc
	global_store_dwordx2 v[2:3], v[0:1], off
.LBB1_2:
	s_endpgm
	.section	.rodata,"a",@progbits
	.p2align	6, 0x0
	.amdhsa_kernel _Z10initrdata2Pdmmmm
		.amdhsa_group_segment_fixed_size 0
		.amdhsa_private_segment_fixed_size 0
		.amdhsa_kernarg_size 296
		.amdhsa_user_sgpr_count 6
		.amdhsa_user_sgpr_private_segment_buffer 1
		.amdhsa_user_sgpr_dispatch_ptr 0
		.amdhsa_user_sgpr_queue_ptr 0
		.amdhsa_user_sgpr_kernarg_segment_ptr 1
		.amdhsa_user_sgpr_dispatch_id 0
		.amdhsa_user_sgpr_flat_scratch_init 0
		.amdhsa_user_sgpr_private_segment_size 0
		.amdhsa_uses_dynamic_stack 0
		.amdhsa_system_sgpr_private_segment_wavefront_offset 0
		.amdhsa_system_sgpr_workgroup_id_x 1
		.amdhsa_system_sgpr_workgroup_id_y 1
		.amdhsa_system_sgpr_workgroup_id_z 0
		.amdhsa_system_sgpr_workgroup_info 0
		.amdhsa_system_vgpr_workitem_id 1
		.amdhsa_next_free_vgpr 13
		.amdhsa_next_free_sgpr 16
		.amdhsa_reserve_vcc 1
		.amdhsa_reserve_flat_scratch 0
		.amdhsa_float_round_mode_32 0
		.amdhsa_float_round_mode_16_64 0
		.amdhsa_float_denorm_mode_32 3
		.amdhsa_float_denorm_mode_16_64 3
		.amdhsa_dx10_clamp 1
		.amdhsa_ieee_mode 1
		.amdhsa_fp16_overflow 0
		.amdhsa_exception_fp_ieee_invalid_op 0
		.amdhsa_exception_fp_denorm_src 0
		.amdhsa_exception_fp_ieee_div_zero 0
		.amdhsa_exception_fp_ieee_overflow 0
		.amdhsa_exception_fp_ieee_underflow 0
		.amdhsa_exception_fp_ieee_inexact 0
		.amdhsa_exception_int_div_zero 0
	.end_amdhsa_kernel
	.text
.Lfunc_end1:
	.size	_Z10initrdata2Pdmmmm, .Lfunc_end1-_Z10initrdata2Pdmmmm
                                        ; -- End function
	.set _Z10initrdata2Pdmmmm.num_vgpr, 13
	.set _Z10initrdata2Pdmmmm.num_agpr, 0
	.set _Z10initrdata2Pdmmmm.numbered_sgpr, 16
	.set _Z10initrdata2Pdmmmm.num_named_barrier, 0
	.set _Z10initrdata2Pdmmmm.private_seg_size, 0
	.set _Z10initrdata2Pdmmmm.uses_vcc, 1
	.set _Z10initrdata2Pdmmmm.uses_flat_scratch, 0
	.set _Z10initrdata2Pdmmmm.has_dyn_sized_stack, 0
	.set _Z10initrdata2Pdmmmm.has_recursion, 0
	.set _Z10initrdata2Pdmmmm.has_indirect_call, 0
	.section	.AMDGPU.csdata,"",@progbits
; Kernel info:
; codeLenInByte = 224
; TotalNumSgprs: 20
; NumVgprs: 13
; ScratchSize: 0
; MemoryBound: 0
; FloatMode: 240
; IeeeMode: 1
; LDSByteSize: 0 bytes/workgroup (compile time only)
; SGPRBlocks: 2
; VGPRBlocks: 3
; NumSGPRsForWavesPerEU: 20
; NumVGPRsForWavesPerEU: 13
; Occupancy: 10
; WaveLimiterHint : 0
; COMPUTE_PGM_RSRC2:SCRATCH_EN: 0
; COMPUTE_PGM_RSRC2:USER_SGPR: 6
; COMPUTE_PGM_RSRC2:TRAP_HANDLER: 0
; COMPUTE_PGM_RSRC2:TGID_X_EN: 1
; COMPUTE_PGM_RSRC2:TGID_Y_EN: 1
; COMPUTE_PGM_RSRC2:TGID_Z_EN: 0
; COMPUTE_PGM_RSRC2:TIDIG_COMP_CNT: 1
	.text
	.protected	_Z10initrdata3Pdmmmmmm  ; -- Begin function _Z10initrdata3Pdmmmmmm
	.globl	_Z10initrdata3Pdmmmmmm
	.p2align	8
	.type	_Z10initrdata3Pdmmmmmm,@function
_Z10initrdata3Pdmmmmmm:                 ; @_Z10initrdata3Pdmmmmmm
; %bb.0:
	s_load_dwordx2 s[0:1], s[4:5], 0x44
	s_load_dwordx8 s[12:19], s[4:5], 0x0
	v_mov_b32_e32 v4, 0
	v_mov_b32_e32 v6, v4
	s_waitcnt lgkmcnt(0)
	s_lshr_b32 s2, s0, 16
	s_and_b32 s0, s0, 0xffff
	s_and_b32 s1, s1, 0xffff
	s_mul_i32 s6, s6, s0
	s_mul_i32 s7, s7, s2
	v_add_u32_e32 v3, s6, v0
	v_add_u32_e32 v0, s7, v1
	v_mov_b32_e32 v1, v4
	s_mul_i32 s8, s8, s1
	v_add_u32_e32 v5, s8, v2
	v_cmp_gt_u64_e32 vcc, s[14:15], v[3:4]
	v_cmp_gt_u64_e64 s[0:1], s[16:17], v[0:1]
	v_cmp_gt_u64_e64 s[2:3], s[18:19], v[5:6]
	s_and_b64 s[0:1], vcc, s[0:1]
	s_and_b64 s[0:1], s[0:1], s[2:3]
	s_and_saveexec_b64 s[2:3], s[0:1]
	s_cbranch_execz .LBB2_14
; %bb.1:
	v_add_co_u32_e32 v4, vcc, 2, v3
	v_addc_co_u32_e64 v1, s[0:1], 0, 0, vcc
	v_cvt_f64_u32_e32 v[1:2], v1
	v_cvt_f64_u32_e32 v[6:7], v4
	s_mov_b32 s0, 0x3ffffffd
	v_cmp_lt_u32_e32 vcc, s0, v3
	v_ldexp_f64 v[1:2], v[1:2], 32
                                        ; implicit-def: $vgpr4
                                        ; implicit-def: $vgpr8_vgpr9
	v_add_f64 v[6:7], v[1:2], v[6:7]
                                        ; implicit-def: $vgpr1_vgpr2
	s_and_saveexec_b64 s[0:1], vcc
	s_xor_b64 s[2:3], exec, s[0:1]
	s_cbranch_execz .LBB2_3
; %bb.2:
	v_trig_preop_f64 v[1:2], v[6:7], 0
	v_trig_preop_f64 v[8:9], v[6:7], 1
	;; [unrolled: 1-line block ×3, first 2 shown]
	s_mov_b32 s0, 0
	s_mov_b32 s1, 0x7ff00000
	v_mov_b32_e32 v4, 0x40100000
	v_mov_b32_e32 v26, 0
	s_mov_b32 s6, 0x33145c07
	s_mov_b32 s7, 0x3c91a626
	v_mul_f64 v[10:11], v[1:2], v[6:7]
	v_mul_f64 v[12:13], v[8:9], v[6:7]
	;; [unrolled: 1-line block ×3, first 2 shown]
	v_fma_f64 v[1:2], v[1:2], v[6:7], -v[10:11]
	v_fma_f64 v[8:9], v[8:9], v[6:7], -v[12:13]
	v_fma_f64 v[6:7], v[16:17], v[6:7], -v[22:23]
	v_add_f64 v[14:15], v[12:13], v[1:2]
	v_add_f64 v[18:19], v[14:15], -v[12:13]
	v_add_f64 v[24:25], v[10:11], v[14:15]
	v_add_f64 v[20:21], v[14:15], -v[18:19]
	v_add_f64 v[1:2], v[1:2], -v[18:19]
	v_add_f64 v[18:19], v[22:23], v[8:9]
	v_add_f64 v[10:11], v[24:25], -v[10:11]
	v_add_f64 v[12:13], v[12:13], -v[20:21]
	v_ldexp_f64 v[20:21], v[24:25], -2
	v_add_f64 v[28:29], v[18:19], -v[22:23]
	v_add_f64 v[10:11], v[14:15], -v[10:11]
	v_add_f64 v[1:2], v[1:2], v[12:13]
	v_fract_f64_e32 v[12:13], v[20:21]
	v_cmp_neq_f64_e64 vcc, |v[20:21]|, s[0:1]
	v_add_f64 v[8:9], v[8:9], -v[28:29]
	v_add_f64 v[14:15], v[18:19], v[1:2]
	v_ldexp_f64 v[12:13], v[12:13], 2
	v_add_f64 v[20:21], v[10:11], v[14:15]
	v_cndmask_b32_e32 v13, 0, v13, vcc
	v_cndmask_b32_e32 v12, 0, v12, vcc
	v_add_f64 v[30:31], v[14:15], -v[18:19]
	v_add_f64 v[24:25], v[20:21], v[12:13]
	v_add_f64 v[10:11], v[20:21], -v[10:11]
	v_add_f64 v[32:33], v[14:15], -v[30:31]
	;; [unrolled: 1-line block ×3, first 2 shown]
	v_cmp_gt_f64_e32 vcc, 0, v[24:25]
	v_add_f64 v[24:25], v[18:19], -v[28:29]
	v_add_f64 v[10:11], v[14:15], -v[10:11]
	;; [unrolled: 1-line block ×3, first 2 shown]
	v_cndmask_b32_e32 v27, 0, v4, vcc
	v_add_f64 v[12:13], v[12:13], v[26:27]
	v_add_f64 v[24:25], v[22:23], -v[24:25]
	v_add_f64 v[1:2], v[1:2], v[18:19]
	v_add_f64 v[34:35], v[20:21], v[12:13]
	v_add_f64 v[8:9], v[8:9], v[24:25]
	v_cvt_i32_f64_e32 v4, v[34:35]
	v_add_f64 v[1:2], v[8:9], v[1:2]
	v_cvt_f64_i32_e32 v[27:28], v4
	v_add_f64 v[12:13], v[12:13], -v[27:28]
	v_add_f64 v[1:2], v[6:7], v[1:2]
	v_add_f64 v[8:9], v[20:21], v[12:13]
	;; [unrolled: 1-line block ×3, first 2 shown]
	v_mov_b32_e32 v10, 0x3ff00000
	v_add_f64 v[6:7], v[8:9], -v[12:13]
	v_cmp_le_f64_e32 vcc, 0.5, v[8:9]
	v_add_f64 v[6:7], v[20:21], -v[6:7]
	v_cndmask_b32_e32 v27, 0, v10, vcc
	v_addc_co_u32_e64 v4, s[0:1], 0, v4, vcc
	s_mov_b32 s0, 0x54442d18
	s_mov_b32 s1, 0x3ff921fb
	v_add_f64 v[1:2], v[1:2], v[6:7]
	v_add_f64 v[6:7], v[8:9], -v[26:27]
	v_add_f64 v[8:9], v[6:7], v[1:2]
	v_mul_f64 v[10:11], v[8:9], s[0:1]
	v_add_f64 v[6:7], v[8:9], -v[6:7]
	v_fma_f64 v[12:13], v[8:9], s[0:1], -v[10:11]
	v_add_f64 v[1:2], v[1:2], -v[6:7]
	v_fma_f64 v[6:7], v[8:9], s[6:7], v[12:13]
	v_fma_f64 v[6:7], v[1:2], s[0:1], v[6:7]
	v_add_f64 v[1:2], v[10:11], v[6:7]
	v_add_f64 v[8:9], v[1:2], -v[10:11]
	v_add_f64 v[8:9], v[6:7], -v[8:9]
                                        ; implicit-def: $vgpr6_vgpr7
.LBB2_3:
	s_andn2_saveexec_b64 s[0:1], s[2:3]
	s_cbranch_execz .LBB2_5
; %bb.4:
	s_mov_b32 s2, 0x6dc9c883
	s_mov_b32 s3, 0x3fe45f30
	v_mul_f64 v[1:2], v[6:7], s[2:3]
	s_mov_b32 s2, 0x54442d18
	s_mov_b32 s3, 0xbff921fb
	;; [unrolled: 1-line block ×4, first 2 shown]
	v_rndne_f64_e32 v[10:11], v[1:2]
	v_fma_f64 v[1:2], v[10:11], s[2:3], v[6:7]
	v_mul_f64 v[6:7], v[10:11], s[6:7]
	s_mov_b32 s2, 0x252049c0
	s_mov_b32 s3, 0xb97b839a
	v_cvt_i32_f64_e32 v4, v[10:11]
	v_fma_f64 v[14:15], v[10:11], s[6:7], v[1:2]
	v_add_f64 v[8:9], v[1:2], v[6:7]
	s_mov_b32 s7, 0x3c91a626
	v_add_f64 v[12:13], v[1:2], -v[8:9]
	v_add_f64 v[8:9], v[8:9], -v[14:15]
	v_add_f64 v[1:2], v[12:13], v[6:7]
	v_fma_f64 v[6:7], v[10:11], s[6:7], v[6:7]
	v_add_f64 v[1:2], v[8:9], v[1:2]
	v_add_f64 v[1:2], v[1:2], -v[6:7]
	v_fma_f64 v[6:7], v[10:11], s[2:3], v[1:2]
	v_add_f64 v[1:2], v[14:15], v[6:7]
	v_add_f64 v[8:9], v[1:2], -v[14:15]
	v_add_f64 v[8:9], v[6:7], -v[8:9]
.LBB2_5:
	s_or_b64 exec, exec, s[0:1]
	v_mul_f64 v[6:7], v[1:2], v[1:2]
	s_mov_b32 s0, 0xf9a43bb8
	v_mov_b32_e32 v10, 0xb42fdfa7
	v_mov_b32_e32 v11, 0xbe5ae600
	s_mov_b32 s1, 0x3de5e0b2
	s_mov_b32 s2, 0x796cde01
	;; [unrolled: 1-line block ×3, first 2 shown]
	v_mov_b32_e32 v12, 0x9037ab78
	v_fma_f64 v[10:11], v[6:7], s[0:1], v[10:11]
	s_mov_b32 s0, 0x46cc5e42
	v_mov_b32_e32 v13, 0x3e21eeb6
	s_mov_b32 s1, 0xbda907db
	v_fma_f64 v[12:13], v[6:7], s[0:1], v[12:13]
	v_mul_f64 v[14:15], v[6:7], 0.5
	s_mov_b32 s6, 0x19e83e5c
	s_mov_b32 s0, 0xa17f65f6
	v_fma_f64 v[10:11], v[6:7], v[10:11], s[2:3]
	s_mov_b32 s7, 0xbf2a01a0
	s_mov_b32 s1, 0xbe927e4f
	;; [unrolled: 1-line block ×3, first 2 shown]
	v_fma_f64 v[12:13], v[6:7], v[12:13], s[0:1]
	v_add_f64 v[16:17], -v[14:15], 1.0
	s_mov_b32 s0, 0x11110bb3
	s_mov_b32 s1, 0x3f811111
	v_fma_f64 v[10:11], v[6:7], v[10:11], s[6:7]
	s_mov_b32 s3, 0x3efa01a0
	v_mul_f64 v[18:19], v[8:9], 0.5
	v_mul_f64 v[20:21], v[1:2], -v[6:7]
	v_fma_f64 v[12:13], v[6:7], v[12:13], s[2:3]
	v_add_f64 v[22:23], -v[16:17], 1.0
	v_fma_f64 v[10:11], v[6:7], v[10:11], s[0:1]
	s_mov_b32 s0, 0x16c16967
	s_mov_b32 s1, 0xbf56c16c
	v_fma_f64 v[12:13], v[6:7], v[12:13], s[0:1]
	v_add_f64 v[14:15], v[22:23], -v[14:15]
	s_mov_b32 s1, 0x3fa55555
	s_mov_b32 s0, 0x55555555
	v_fma_f64 v[10:11], v[20:21], v[10:11], v[18:19]
	v_mul_f64 v[18:19], v[6:7], v[6:7]
	v_fma_f64 v[10:11], v[6:7], v[10:11], -v[8:9]
	v_fma_f64 v[6:7], v[6:7], v[12:13], s[0:1]
	v_fma_f64 v[8:9], v[1:2], -v[8:9], v[14:15]
	s_mov_b32 s1, 0xbfc55555
	v_fma_f64 v[10:11], v[20:21], s[0:1], v[10:11]
	s_mov_b32 s0, 0
	v_fma_f64 v[6:7], v[18:19], v[6:7], v[8:9]
	v_and_b32_e32 v8, 1, v4
	v_lshlrev_b32_e32 v4, 30, v4
	v_cmp_eq_u32_e32 vcc, 0, v8
	v_and_b32_e32 v4, 0x80000000, v4
	s_mov_b32 s1, 0x41d00000
	v_add_f64 v[1:2], v[1:2], -v[10:11]
                                        ; implicit-def: $vgpr10_vgpr11
	v_add_f64 v[6:7], v[16:17], v[6:7]
	v_xor_b32_e32 v2, 0x80000000, v2
	v_cndmask_b32_e32 v2, v2, v7, vcc
	v_cndmask_b32_e32 v1, v1, v6, vcc
	v_xor_b32_e32 v2, v2, v4
	v_cmp_nlt_f64_e64 s[0:1], |v[1:2]|, s[0:1]
                                        ; implicit-def: $vgpr4
                                        ; implicit-def: $vgpr6_vgpr7
	s_and_saveexec_b64 s[2:3], s[0:1]
	s_xor_b64 s[2:3], exec, s[2:3]
	s_cbranch_execz .LBB2_7
; %bb.6:
	v_trig_preop_f64 v[6:7], |v[1:2]|, 0
	s_mov_b32 s0, 0
	s_mov_b32 s1, 0x7b000000
	s_movk_i32 s6, 0xff80
	v_ldexp_f64 v[10:11], |v[1:2]|, s6
	v_cmp_ge_f64_e64 vcc, |v[1:2]|, s[0:1]
	v_trig_preop_f64 v[8:9], |v[1:2]|, 1
	v_and_b32_e32 v4, 0x7fffffff, v2
	v_trig_preop_f64 v[18:19], |v[1:2]|, 2
	s_mov_b32 s0, 0
	s_mov_b32 s1, 0x7ff00000
	v_mov_b32_e32 v28, 0
	s_mov_b32 s6, 0x33145c07
	v_cndmask_b32_e32 v11, v4, v11, vcc
	v_cndmask_b32_e32 v10, v1, v10, vcc
	v_mov_b32_e32 v4, 0x40100000
	v_mul_f64 v[12:13], v[6:7], v[10:11]
	s_mov_b32 s7, 0x3c91a626
	v_mul_f64 v[14:15], v[8:9], v[10:11]
	v_mul_f64 v[24:25], v[18:19], v[10:11]
	v_fma_f64 v[6:7], v[6:7], v[10:11], -v[12:13]
	v_fma_f64 v[8:9], v[8:9], v[10:11], -v[14:15]
	;; [unrolled: 1-line block ×3, first 2 shown]
	v_add_f64 v[16:17], v[14:15], v[6:7]
	v_add_f64 v[20:21], v[16:17], -v[14:15]
	v_add_f64 v[26:27], v[12:13], v[16:17]
	v_add_f64 v[22:23], v[16:17], -v[20:21]
	v_add_f64 v[6:7], v[6:7], -v[20:21]
	v_add_f64 v[20:21], v[24:25], v[8:9]
	v_add_f64 v[12:13], v[26:27], -v[12:13]
	v_add_f64 v[14:15], v[14:15], -v[22:23]
	v_ldexp_f64 v[22:23], v[26:27], -2
	v_add_f64 v[30:31], v[20:21], -v[24:25]
	v_add_f64 v[12:13], v[16:17], -v[12:13]
	v_add_f64 v[6:7], v[6:7], v[14:15]
	v_fract_f64_e32 v[14:15], v[22:23]
	v_cmp_neq_f64_e64 vcc, |v[22:23]|, s[0:1]
	v_add_f64 v[8:9], v[8:9], -v[30:31]
	v_add_f64 v[16:17], v[20:21], v[6:7]
	v_ldexp_f64 v[14:15], v[14:15], 2
	v_add_f64 v[22:23], v[12:13], v[16:17]
	v_cndmask_b32_e32 v15, 0, v15, vcc
	v_cndmask_b32_e32 v14, 0, v14, vcc
	v_add_f64 v[32:33], v[16:17], -v[20:21]
	v_add_f64 v[26:27], v[22:23], v[14:15]
	v_add_f64 v[12:13], v[22:23], -v[12:13]
	v_add_f64 v[34:35], v[16:17], -v[32:33]
	;; [unrolled: 1-line block ×3, first 2 shown]
	v_cmp_gt_f64_e32 vcc, 0, v[26:27]
	v_add_f64 v[26:27], v[20:21], -v[30:31]
	v_add_f64 v[12:13], v[16:17], -v[12:13]
	;; [unrolled: 1-line block ×3, first 2 shown]
	v_cndmask_b32_e32 v29, 0, v4, vcc
	v_add_f64 v[14:15], v[14:15], v[28:29]
	v_add_f64 v[26:27], v[24:25], -v[26:27]
	v_add_f64 v[6:7], v[6:7], v[20:21]
	v_add_f64 v[29:30], v[22:23], v[14:15]
	;; [unrolled: 1-line block ×3, first 2 shown]
	v_cvt_i32_f64_e32 v4, v[29:30]
	v_add_f64 v[6:7], v[8:9], v[6:7]
	v_cvt_f64_i32_e32 v[29:30], v4
	v_add_f64 v[14:15], v[14:15], -v[29:30]
	v_add_f64 v[6:7], v[10:11], v[6:7]
	v_add_f64 v[8:9], v[22:23], v[14:15]
	;; [unrolled: 1-line block ×3, first 2 shown]
	v_mov_b32_e32 v12, 0x3ff00000
	v_add_f64 v[10:11], v[8:9], -v[14:15]
	v_cmp_le_f64_e32 vcc, 0.5, v[8:9]
	v_add_f64 v[10:11], v[22:23], -v[10:11]
	v_cndmask_b32_e32 v29, 0, v12, vcc
	v_add_f64 v[8:9], v[8:9], -v[28:29]
	v_addc_co_u32_e64 v4, s[0:1], 0, v4, vcc
	s_mov_b32 s0, 0x54442d18
	s_mov_b32 s1, 0x3ff921fb
	v_add_f64 v[6:7], v[6:7], v[10:11]
	v_add_f64 v[10:11], v[8:9], v[6:7]
	v_mul_f64 v[12:13], v[10:11], s[0:1]
	v_add_f64 v[8:9], v[10:11], -v[8:9]
	v_fma_f64 v[14:15], v[10:11], s[0:1], -v[12:13]
	v_add_f64 v[6:7], v[6:7], -v[8:9]
	v_fma_f64 v[8:9], v[10:11], s[6:7], v[14:15]
	v_fma_f64 v[8:9], v[6:7], s[0:1], v[8:9]
	v_add_f64 v[6:7], v[12:13], v[8:9]
	v_add_f64 v[10:11], v[6:7], -v[12:13]
	v_add_f64 v[10:11], v[8:9], -v[10:11]
.LBB2_7:
	s_or_saveexec_b64 s[0:1], s[2:3]
	s_load_dwordx8 s[16:23], s[4:5], 0x20
	s_xor_b64 exec, exec, s[0:1]
	s_cbranch_execz .LBB2_9
; %bb.8:
	s_mov_b32 s2, 0x6dc9c883
	s_mov_b32 s3, 0x3fe45f30
	v_mul_f64 v[6:7], |v[1:2]|, s[2:3]
	s_mov_b32 s2, 0x54442d18
	s_mov_b32 s3, 0xbff921fb
	;; [unrolled: 1-line block ×4, first 2 shown]
	v_rndne_f64_e32 v[8:9], v[6:7]
	v_fma_f64 v[6:7], v[8:9], s[2:3], |v[1:2]|
	v_mul_f64 v[10:11], v[8:9], s[4:5]
	s_mov_b32 s2, 0x252049c0
	s_mov_b32 s3, 0xb97b839a
	v_cvt_i32_f64_e32 v4, v[8:9]
	v_fma_f64 v[16:17], v[8:9], s[4:5], v[6:7]
	v_add_f64 v[12:13], v[6:7], v[10:11]
	s_mov_b32 s5, 0x3c91a626
	v_add_f64 v[14:15], v[6:7], -v[12:13]
	v_add_f64 v[12:13], v[12:13], -v[16:17]
	v_add_f64 v[6:7], v[14:15], v[10:11]
	v_fma_f64 v[10:11], v[8:9], s[4:5], v[10:11]
	v_add_f64 v[6:7], v[12:13], v[6:7]
	v_add_f64 v[6:7], v[6:7], -v[10:11]
	v_fma_f64 v[10:11], v[8:9], s[2:3], v[6:7]
	v_add_f64 v[6:7], v[16:17], v[10:11]
	v_add_f64 v[12:13], v[6:7], -v[16:17]
	v_add_f64 v[10:11], v[10:11], -v[12:13]
.LBB2_9:
	s_or_b64 exec, exec, s[0:1]
	v_mad_u64_u32 v[12:13], s[0:1], v0, v0, 0
	s_mov_b64 s[0:1], 0x3ffffffe
                                        ; implicit-def: $vgpr18
	v_add_co_u32_e32 v14, vcc, 1, v12
	v_addc_co_u32_e32 v8, vcc, 0, v13, vcc
	v_cvt_f64_u32_e32 v[8:9], v8
	v_cvt_f64_u32_e32 v[14:15], v14
	v_cmp_lt_u64_e32 vcc, s[0:1], v[12:13]
                                        ; implicit-def: $vgpr12_vgpr13
	v_ldexp_f64 v[8:9], v[8:9], 32
	v_add_f64 v[8:9], v[8:9], v[14:15]
                                        ; implicit-def: $vgpr14_vgpr15
	s_and_saveexec_b64 s[0:1], vcc
	s_xor_b64 s[0:1], exec, s[0:1]
	s_cbranch_execz .LBB2_11
; %bb.10:
	v_trig_preop_f64 v[12:13], v[8:9], 0
	v_trig_preop_f64 v[14:15], v[8:9], 1
	s_mov_b32 s2, 0
	s_mov_b32 s3, 0x7ff00000
	s_mov_b32 s4, 0x33145c07
	s_mov_b32 s5, 0x3c91a626
	v_mul_f64 v[16:17], v[12:13], v[8:9]
	v_mul_f64 v[18:19], v[14:15], v[8:9]
	v_fma_f64 v[20:21], v[12:13], v[8:9], -v[16:17]
	v_trig_preop_f64 v[12:13], v[8:9], 2
	v_fma_f64 v[30:31], v[14:15], v[8:9], -v[18:19]
	v_add_f64 v[22:23], v[18:19], v[20:21]
	v_add_f64 v[24:25], v[22:23], -v[18:19]
	v_add_f64 v[26:27], v[16:17], v[22:23]
	v_mul_f64 v[14:15], v[12:13], v[8:9]
	v_add_f64 v[28:29], v[22:23], -v[24:25]
	v_add_f64 v[20:21], v[20:21], -v[24:25]
	v_ldexp_f64 v[24:25], v[26:27], -2
	v_add_f64 v[26:27], v[26:27], -v[16:17]
	v_fma_f64 v[12:13], v[12:13], v[8:9], -v[14:15]
	v_add_f64 v[18:19], v[18:19], -v[28:29]
	v_fract_f64_e32 v[16:17], v[24:25]
	v_cmp_neq_f64_e64 vcc, |v[24:25]|, s[2:3]
	v_add_f64 v[22:23], v[22:23], -v[26:27]
	s_mov_b32 s2, 0x54442d18
	s_mov_b32 s3, 0x3ff921fb
	v_add_f64 v[18:19], v[20:21], v[18:19]
	v_add_f64 v[20:21], v[14:15], v[30:31]
	v_ldexp_f64 v[24:25], v[16:17], 2
	v_add_f64 v[16:17], v[20:21], v[18:19]
	v_add_f64 v[28:29], v[20:21], -v[14:15]
	v_cndmask_b32_e32 v25, 0, v25, vcc
	v_cndmask_b32_e32 v24, 0, v24, vcc
	v_add_f64 v[26:27], v[16:17], -v[20:21]
	v_add_f64 v[30:31], v[30:31], -v[28:29]
	;; [unrolled: 1-line block ×7, first 2 shown]
	v_add_f64 v[26:27], v[22:23], v[16:17]
	v_add_f64 v[28:29], v[30:31], v[28:29]
	v_mov_b32_e32 v30, 0x40100000
	v_add_f64 v[18:19], v[18:19], v[20:21]
	v_add_f64 v[32:33], v[26:27], v[24:25]
	v_mov_b32_e32 v20, 0
	v_add_f64 v[14:15], v[26:27], -v[22:23]
	v_add_f64 v[18:19], v[28:29], v[18:19]
	v_cmp_gt_f64_e32 vcc, 0, v[32:33]
	v_add_f64 v[14:15], v[16:17], -v[14:15]
	v_add_f64 v[12:13], v[12:13], v[18:19]
	v_cndmask_b32_e32 v21, 0, v30, vcc
	v_add_f64 v[24:25], v[24:25], v[20:21]
	v_add_f64 v[12:13], v[14:15], v[12:13]
	;; [unrolled: 1-line block ×3, first 2 shown]
	v_cvt_i32_f64_e32 v32, v[30:31]
	v_cvt_f64_i32_e32 v[30:31], v32
	v_add_f64 v[24:25], v[24:25], -v[30:31]
	v_add_f64 v[22:23], v[26:27], v[24:25]
	v_add_f64 v[16:17], v[22:23], -v[24:25]
	v_cmp_le_f64_e32 vcc, 0.5, v[22:23]
	v_add_f64 v[14:15], v[26:27], -v[16:17]
	v_mov_b32_e32 v16, 0x3ff00000
	v_cndmask_b32_e32 v21, 0, v16, vcc
	v_add_f64 v[12:13], v[12:13], v[14:15]
	v_add_f64 v[14:15], v[22:23], -v[20:21]
	v_add_f64 v[16:17], v[14:15], v[12:13]
	v_mul_f64 v[18:19], v[16:17], s[2:3]
	v_add_f64 v[14:15], v[16:17], -v[14:15]
	v_fma_f64 v[20:21], v[16:17], s[2:3], -v[18:19]
	v_add_f64 v[12:13], v[12:13], -v[14:15]
	v_fma_f64 v[14:15], v[16:17], s[4:5], v[20:21]
	v_fma_f64 v[14:15], v[12:13], s[2:3], v[14:15]
	v_add_f64 v[12:13], v[18:19], v[14:15]
	v_add_f64 v[16:17], v[12:13], -v[18:19]
	v_addc_co_u32_e32 v18, vcc, 0, v32, vcc
	v_add_f64 v[14:15], v[14:15], -v[16:17]
.LBB2_11:
	s_andn2_saveexec_b64 s[0:1], s[0:1]
	s_cbranch_execz .LBB2_13
; %bb.12:
	s_mov_b32 s2, 0x6dc9c883
	s_mov_b32 s3, 0x3fe45f30
	v_mul_f64 v[12:13], v[8:9], s[2:3]
	s_mov_b32 s2, 0x54442d18
	s_mov_b32 s3, 0xbff921fb
	;; [unrolled: 1-line block ×4, first 2 shown]
	v_rndne_f64_e32 v[16:17], v[12:13]
	v_fma_f64 v[12:13], v[16:17], s[2:3], v[8:9]
	v_mul_f64 v[14:15], v[16:17], s[4:5]
	s_mov_b32 s2, 0x252049c0
	s_mov_b32 s3, 0xb97b839a
	v_fma_f64 v[22:23], v[16:17], s[4:5], v[12:13]
	v_add_f64 v[18:19], v[12:13], v[14:15]
	s_mov_b32 s5, 0x3c91a626
	v_add_f64 v[20:21], v[12:13], -v[18:19]
	v_add_f64 v[18:19], v[18:19], -v[22:23]
	v_add_f64 v[12:13], v[20:21], v[14:15]
	v_fma_f64 v[14:15], v[16:17], s[4:5], v[14:15]
	v_add_f64 v[12:13], v[18:19], v[12:13]
	v_add_f64 v[12:13], v[12:13], -v[14:15]
	v_fma_f64 v[14:15], v[16:17], s[2:3], v[12:13]
	v_add_f64 v[12:13], v[22:23], v[14:15]
	v_add_f64 v[18:19], v[12:13], -v[22:23]
	v_add_f64 v[14:15], v[14:15], -v[18:19]
	v_cvt_i32_f64_e32 v18, v[16:17]
.LBB2_13:
	s_or_b64 exec, exec, s[0:1]
	v_mul_f64 v[19:20], v[6:7], v[6:7]
	s_mov_b32 s2, 0x9037ab78
	s_mov_b32 s3, 0x3e21eeb6
	;; [unrolled: 1-line block ×3, first 2 shown]
	v_mov_b32_e32 v17, s3
	s_mov_b32 s1, 0xbda907db
	v_mov_b32_e32 v16, s2
	s_mov_b32 s2, 0xa17f65f6
	v_fma_f64 v[21:22], v[19:20], s[0:1], v[16:17]
	v_mul_f64 v[23:24], v[19:20], 0.5
	s_mov_b32 s3, 0xbe927e4f
	s_mov_b32 s4, 0x19f4ec90
	;; [unrolled: 1-line block ×6, first 2 shown]
	v_fma_f64 v[21:22], v[19:20], v[21:22], s[2:3]
	v_add_f64 v[25:26], -v[23:24], 1.0
	s_mov_b32 s9, 0x3fa55555
	s_mov_b32 s10, 0xb42fdfa7
	;; [unrolled: 1-line block ×5, first 2 shown]
	s_waitcnt lgkmcnt(0)
	s_mov_b32 s22, 0x19e83e5c
	v_fma_f64 v[21:22], v[19:20], v[21:22], s[4:5]
	v_add_f64 v[27:28], -v[25:26], 1.0
	s_mov_b32 s23, 0xbf2a01a0
	s_mov_b32 s24, 0x11110bb3
	;; [unrolled: 1-line block ×3, first 2 shown]
	v_mul_f64 v[29:30], v[10:11], 0.5
	v_mul_f64 v[31:32], v[6:7], -v[19:20]
	s_mov_b32 s27, 0xbfc55555
	v_fma_f64 v[21:22], v[19:20], v[21:22], s[6:7]
	v_add_f64 v[23:24], v[27:28], -v[23:24]
	v_mul_f64 v[27:28], v[19:20], v[19:20]
	s_mov_b32 s26, s8
	v_and_b32_e32 v8, 1, v4
	v_cmp_eq_u32_e32 vcc, 0, v8
	v_lshlrev_b32_e32 v4, 30, v4
	v_and_b32_e32 v4, 0x80000000, v4
	v_fma_f64 v[21:22], v[19:20], v[21:22], s[8:9]
	v_fma_f64 v[23:24], v[6:7], -v[10:11], v[23:24]
	v_fma_f64 v[21:22], v[27:28], v[21:22], v[23:24]
	v_mov_b32_e32 v24, s11
	v_mov_b32_e32 v23, s10
	v_fma_f64 v[27:28], v[19:20], s[14:15], v[23:24]
	s_mov_b32 s10, 0x796cde01
	s_mov_b32 s11, 0x3ec71de3
	v_add_f64 v[21:22], v[25:26], v[21:22]
	v_fma_f64 v[27:28], v[19:20], v[27:28], s[10:11]
	v_fma_f64 v[27:28], v[19:20], v[27:28], s[22:23]
	;; [unrolled: 1-line block ×4, first 2 shown]
	v_fma_f64 v[10:11], v[19:20], v[27:28], -v[10:11]
	v_mul_f64 v[19:20], v[12:13], v[12:13]
	v_fma_f64 v[10:11], v[31:32], s[26:27], v[10:11]
	v_mul_f64 v[27:28], v[19:20], 0.5
	v_fma_f64 v[23:24], v[19:20], s[14:15], v[23:24]
	v_mul_f64 v[31:32], v[14:15], 0.5
	v_add_f64 v[6:7], v[6:7], -v[10:11]
	v_add_f64 v[29:30], -v[27:28], 1.0
	v_fma_f64 v[23:24], v[19:20], v[23:24], s[10:11]
	v_fma_f64 v[10:11], v[19:20], s[0:1], v[16:17]
	s_movk_i32 s0, 0x1f8
	v_xor_b32_e32 v7, 0x80000000, v7
	v_add_f64 v[33:34], -v[29:30], 1.0
	v_fma_f64 v[23:24], v[19:20], v[23:24], s[22:23]
	v_fma_f64 v[10:11], v[19:20], v[10:11], s[2:3]
	v_cndmask_b32_e32 v8, v6, v21, vcc
	v_cndmask_b32_e32 v21, v7, v22, vcc
	v_cmp_class_f64_e64 vcc, v[1:2], s0
	v_xor_b32_e32 v4, v21, v4
	v_add_f64 v[27:28], v[33:34], -v[27:28]
	v_fma_f64 v[23:24], v[19:20], v[23:24], s[24:25]
	v_mul_f64 v[33:34], v[12:13], -v[19:20]
	v_fma_f64 v[10:11], v[19:20], v[10:11], s[4:5]
	v_fma_f64 v[23:24], v[33:34], v[23:24], v[31:32]
	;; [unrolled: 1-line block ×3, first 2 shown]
	v_fma_f64 v[16:17], v[19:20], v[23:24], -v[14:15]
	v_fma_f64 v[10:11], v[19:20], v[10:11], s[8:9]
	v_mul_f64 v[19:20], v[19:20], v[19:20]
	v_fma_f64 v[14:15], v[12:13], -v[14:15], v[27:28]
	v_fma_f64 v[6:7], v[33:34], s[26:27], v[16:17]
	v_mad_u64_u32 v[16:17], s[0:1], s16, v3, 0
	v_fma_f64 v[1:2], v[19:20], v[10:11], v[14:15]
	v_cndmask_b32_e32 v10, 0, v8, vcc
	v_mov_b32_e32 v8, 0x7ff80000
	v_cndmask_b32_e32 v11, v8, v4, vcc
	v_add_co_u32_e32 v4, vcc, 1, v5
	v_add_f64 v[6:7], v[12:13], -v[6:7]
	v_addc_co_u32_e64 v8, s[0:1], 0, 0, vcc
	v_add_f64 v[1:2], v[29:30], v[1:2]
	v_cvt_f64_u32_e32 v[12:13], v8
	v_and_b32_e32 v8, 1, v18
	v_cmp_eq_u32_e32 vcc, 0, v8
	v_ldexp_f64 v[12:13], v[12:13], 32
	v_cndmask_b32_e32 v1, v1, v6, vcc
	v_lshlrev_b32_e32 v6, 30, v18
	v_cndmask_b32_e32 v2, v2, v7, vcc
	v_xor_b32_e32 v8, v6, v9
	v_cvt_f64_u32_e32 v[6:7], v4
	v_and_b32_e32 v4, 0x80000000, v8
	v_xor_b32_e32 v2, v2, v4
	v_mul_f64 v[1:2], v[10:11], v[1:2]
	v_add_f64 v[6:7], v[12:13], v[6:7]
	v_mad_u64_u32 v[18:19], s[0:1], s18, v0, 0
	v_mov_b32_e32 v4, v17
	v_mad_u64_u32 v[3:4], s[0:1], s17, v3, v[4:5]
	v_mov_b32_e32 v17, v19
	v_div_scale_f64 v[8:9], s[0:1], v[6:7], v[6:7], v[1:2]
	v_rcp_f64_e32 v[10:11], v[8:9]
	v_fma_f64 v[12:13], -v[8:9], v[10:11], 1.0
	v_fma_f64 v[10:11], v[10:11], v[12:13], v[10:11]
	v_div_scale_f64 v[12:13], vcc, v[1:2], v[6:7], v[1:2]
	v_fma_f64 v[14:15], -v[8:9], v[10:11], 1.0
	v_fma_f64 v[10:11], v[10:11], v[14:15], v[10:11]
	v_mul_f64 v[14:15], v[12:13], v[10:11]
	v_fma_f64 v[8:9], -v[8:9], v[14:15], v[12:13]
	v_mad_u64_u32 v[12:13], s[0:1], s20, v5, 0
	v_mad_u64_u32 v[4:5], s[0:1], s21, v5, v[13:14]
	v_div_fmas_f64 v[8:9], v[8:9], v[10:11], v[14:15]
	v_mad_u64_u32 v[10:11], s[0:1], s19, v0, v[17:18]
	v_mov_b32_e32 v17, v3
	v_mov_b32_e32 v13, v4
	v_lshlrev_b64 v[3:4], 3, v[16:17]
	v_mov_b32_e32 v0, s13
	v_add_co_u32_e32 v3, vcc, s12, v3
	v_addc_co_u32_e32 v4, vcc, v0, v4, vcc
	v_mov_b32_e32 v19, v10
	v_lshlrev_b64 v[10:11], 3, v[18:19]
	v_add_co_u32_e32 v5, vcc, v3, v10
	v_div_fixup_f64 v[0:1], v[8:9], v[6:7], v[1:2]
	v_lshlrev_b64 v[2:3], 3, v[12:13]
	v_addc_co_u32_e32 v4, vcc, v4, v11, vcc
	v_add_co_u32_e32 v2, vcc, v5, v2
	v_addc_co_u32_e32 v3, vcc, v4, v3, vcc
	global_store_dwordx2 v[2:3], v[0:1], off
.LBB2_14:
	s_endpgm
	.section	.rodata,"a",@progbits
	.p2align	6, 0x0
	.amdhsa_kernel _Z10initrdata3Pdmmmmmm
		.amdhsa_group_segment_fixed_size 0
		.amdhsa_private_segment_fixed_size 0
		.amdhsa_kernarg_size 312
		.amdhsa_user_sgpr_count 6
		.amdhsa_user_sgpr_private_segment_buffer 1
		.amdhsa_user_sgpr_dispatch_ptr 0
		.amdhsa_user_sgpr_queue_ptr 0
		.amdhsa_user_sgpr_kernarg_segment_ptr 1
		.amdhsa_user_sgpr_dispatch_id 0
		.amdhsa_user_sgpr_flat_scratch_init 0
		.amdhsa_user_sgpr_private_segment_size 0
		.amdhsa_uses_dynamic_stack 0
		.amdhsa_system_sgpr_private_segment_wavefront_offset 0
		.amdhsa_system_sgpr_workgroup_id_x 1
		.amdhsa_system_sgpr_workgroup_id_y 1
		.amdhsa_system_sgpr_workgroup_id_z 1
		.amdhsa_system_sgpr_workgroup_info 0
		.amdhsa_system_vgpr_workitem_id 2
		.amdhsa_next_free_vgpr 36
		.amdhsa_next_free_sgpr 28
		.amdhsa_reserve_vcc 1
		.amdhsa_reserve_flat_scratch 0
		.amdhsa_float_round_mode_32 0
		.amdhsa_float_round_mode_16_64 0
		.amdhsa_float_denorm_mode_32 3
		.amdhsa_float_denorm_mode_16_64 3
		.amdhsa_dx10_clamp 1
		.amdhsa_ieee_mode 1
		.amdhsa_fp16_overflow 0
		.amdhsa_exception_fp_ieee_invalid_op 0
		.amdhsa_exception_fp_denorm_src 0
		.amdhsa_exception_fp_ieee_div_zero 0
		.amdhsa_exception_fp_ieee_overflow 0
		.amdhsa_exception_fp_ieee_underflow 0
		.amdhsa_exception_fp_ieee_inexact 0
		.amdhsa_exception_int_div_zero 0
	.end_amdhsa_kernel
	.text
.Lfunc_end2:
	.size	_Z10initrdata3Pdmmmmmm, .Lfunc_end2-_Z10initrdata3Pdmmmmmm
                                        ; -- End function
	.set _Z10initrdata3Pdmmmmmm.num_vgpr, 36
	.set _Z10initrdata3Pdmmmmmm.num_agpr, 0
	.set _Z10initrdata3Pdmmmmmm.numbered_sgpr, 28
	.set _Z10initrdata3Pdmmmmmm.num_named_barrier, 0
	.set _Z10initrdata3Pdmmmmmm.private_seg_size, 0
	.set _Z10initrdata3Pdmmmmmm.uses_vcc, 1
	.set _Z10initrdata3Pdmmmmmm.uses_flat_scratch, 0
	.set _Z10initrdata3Pdmmmmmm.has_dyn_sized_stack, 0
	.set _Z10initrdata3Pdmmmmmm.has_recursion, 0
	.set _Z10initrdata3Pdmmmmmm.has_indirect_call, 0
	.section	.AMDGPU.csdata,"",@progbits
; Kernel info:
; codeLenInByte = 4048
; TotalNumSgprs: 32
; NumVgprs: 36
; ScratchSize: 0
; MemoryBound: 0
; FloatMode: 240
; IeeeMode: 1
; LDSByteSize: 0 bytes/workgroup (compile time only)
; SGPRBlocks: 3
; VGPRBlocks: 8
; NumSGPRsForWavesPerEU: 32
; NumVGPRsForWavesPerEU: 36
; Occupancy: 7
; WaveLimiterHint : 0
; COMPUTE_PGM_RSRC2:SCRATCH_EN: 0
; COMPUTE_PGM_RSRC2:USER_SGPR: 6
; COMPUTE_PGM_RSRC2:TRAP_HANDLER: 0
; COMPUTE_PGM_RSRC2:TGID_X_EN: 1
; COMPUTE_PGM_RSRC2:TGID_Y_EN: 1
; COMPUTE_PGM_RSRC2:TGID_Z_EN: 1
; COMPUTE_PGM_RSRC2:TIDIG_COMP_CNT: 2
	.text
	.protected	_Z10initcdata1P15HIP_vector_typeIdLj2EEmm ; -- Begin function _Z10initcdata1P15HIP_vector_typeIdLj2EEmm
	.globl	_Z10initcdata1P15HIP_vector_typeIdLj2EEmm
	.p2align	8
	.type	_Z10initcdata1P15HIP_vector_typeIdLj2EEmm,@function
_Z10initcdata1P15HIP_vector_typeIdLj2EEmm: ; @_Z10initcdata1P15HIP_vector_typeIdLj2EEmm
; %bb.0:
	s_load_dword s7, s[4:5], 0x24
	s_load_dwordx4 s[0:3], s[4:5], 0x0
	v_mov_b32_e32 v1, 0
	s_waitcnt lgkmcnt(0)
	s_and_b32 s7, s7, 0xffff
	s_mul_i32 s6, s6, s7
	v_add_u32_e32 v0, s6, v0
	v_cmp_gt_u64_e32 vcc, s[2:3], v[0:1]
	s_and_saveexec_b64 s[2:3], vcc
	s_cbranch_execz .LBB3_2
; %bb.1:
	v_add_co_u32_e32 v5, vcc, 1, v0
	s_load_dwordx2 s[2:3], s[4:5], 0x10
	v_addc_co_u32_e64 v1, s[4:5], 0, 0, vcc
	v_cvt_f64_u32_e32 v[1:2], v1
	v_cvt_f64_u32_e32 v[5:6], v5
	s_waitcnt lgkmcnt(0)
	v_mad_u64_u32 v[3:4], s[4:5], s2, v0, 0
	v_ldexp_f64 v[1:2], v[1:2], 32
	v_mad_u64_u32 v[7:8], s[2:3], s3, v0, v[4:5]
	v_mov_b32_e32 v4, v7
	v_add_f64 v[0:1], v[1:2], v[5:6]
	v_lshlrev_b64 v[2:3], 4, v[3:4]
	v_mov_b32_e32 v5, s1
	v_add_co_u32_e32 v4, vcc, s0, v2
	v_addc_co_u32_e32 v5, vcc, v5, v3, vcc
	v_mov_b32_e32 v2, v0
	v_mov_b32_e32 v3, v1
	global_store_dwordx4 v[4:5], v[0:3], off
.LBB3_2:
	s_endpgm
	.section	.rodata,"a",@progbits
	.p2align	6, 0x0
	.amdhsa_kernel _Z10initcdata1P15HIP_vector_typeIdLj2EEmm
		.amdhsa_group_segment_fixed_size 0
		.amdhsa_private_segment_fixed_size 0
		.amdhsa_kernarg_size 280
		.amdhsa_user_sgpr_count 6
		.amdhsa_user_sgpr_private_segment_buffer 1
		.amdhsa_user_sgpr_dispatch_ptr 0
		.amdhsa_user_sgpr_queue_ptr 0
		.amdhsa_user_sgpr_kernarg_segment_ptr 1
		.amdhsa_user_sgpr_dispatch_id 0
		.amdhsa_user_sgpr_flat_scratch_init 0
		.amdhsa_user_sgpr_private_segment_size 0
		.amdhsa_uses_dynamic_stack 0
		.amdhsa_system_sgpr_private_segment_wavefront_offset 0
		.amdhsa_system_sgpr_workgroup_id_x 1
		.amdhsa_system_sgpr_workgroup_id_y 0
		.amdhsa_system_sgpr_workgroup_id_z 0
		.amdhsa_system_sgpr_workgroup_info 0
		.amdhsa_system_vgpr_workitem_id 0
		.amdhsa_next_free_vgpr 9
		.amdhsa_next_free_sgpr 8
		.amdhsa_reserve_vcc 1
		.amdhsa_reserve_flat_scratch 0
		.amdhsa_float_round_mode_32 0
		.amdhsa_float_round_mode_16_64 0
		.amdhsa_float_denorm_mode_32 3
		.amdhsa_float_denorm_mode_16_64 3
		.amdhsa_dx10_clamp 1
		.amdhsa_ieee_mode 1
		.amdhsa_fp16_overflow 0
		.amdhsa_exception_fp_ieee_invalid_op 0
		.amdhsa_exception_fp_denorm_src 0
		.amdhsa_exception_fp_ieee_div_zero 0
		.amdhsa_exception_fp_ieee_overflow 0
		.amdhsa_exception_fp_ieee_underflow 0
		.amdhsa_exception_fp_ieee_inexact 0
		.amdhsa_exception_int_div_zero 0
	.end_amdhsa_kernel
	.text
.Lfunc_end3:
	.size	_Z10initcdata1P15HIP_vector_typeIdLj2EEmm, .Lfunc_end3-_Z10initcdata1P15HIP_vector_typeIdLj2EEmm
                                        ; -- End function
	.set _Z10initcdata1P15HIP_vector_typeIdLj2EEmm.num_vgpr, 9
	.set _Z10initcdata1P15HIP_vector_typeIdLj2EEmm.num_agpr, 0
	.set _Z10initcdata1P15HIP_vector_typeIdLj2EEmm.numbered_sgpr, 8
	.set _Z10initcdata1P15HIP_vector_typeIdLj2EEmm.num_named_barrier, 0
	.set _Z10initcdata1P15HIP_vector_typeIdLj2EEmm.private_seg_size, 0
	.set _Z10initcdata1P15HIP_vector_typeIdLj2EEmm.uses_vcc, 1
	.set _Z10initcdata1P15HIP_vector_typeIdLj2EEmm.uses_flat_scratch, 0
	.set _Z10initcdata1P15HIP_vector_typeIdLj2EEmm.has_dyn_sized_stack, 0
	.set _Z10initcdata1P15HIP_vector_typeIdLj2EEmm.has_recursion, 0
	.set _Z10initcdata1P15HIP_vector_typeIdLj2EEmm.has_indirect_call, 0
	.section	.AMDGPU.csdata,"",@progbits
; Kernel info:
; codeLenInByte = 160
; TotalNumSgprs: 12
; NumVgprs: 9
; ScratchSize: 0
; MemoryBound: 0
; FloatMode: 240
; IeeeMode: 1
; LDSByteSize: 0 bytes/workgroup (compile time only)
; SGPRBlocks: 1
; VGPRBlocks: 2
; NumSGPRsForWavesPerEU: 12
; NumVGPRsForWavesPerEU: 9
; Occupancy: 10
; WaveLimiterHint : 0
; COMPUTE_PGM_RSRC2:SCRATCH_EN: 0
; COMPUTE_PGM_RSRC2:USER_SGPR: 6
; COMPUTE_PGM_RSRC2:TRAP_HANDLER: 0
; COMPUTE_PGM_RSRC2:TGID_X_EN: 1
; COMPUTE_PGM_RSRC2:TGID_Y_EN: 0
; COMPUTE_PGM_RSRC2:TGID_Z_EN: 0
; COMPUTE_PGM_RSRC2:TIDIG_COMP_CNT: 0
	.text
	.protected	_Z10initcdata2P15HIP_vector_typeIdLj2EEmmmm ; -- Begin function _Z10initcdata2P15HIP_vector_typeIdLj2EEmmmm
	.globl	_Z10initcdata2P15HIP_vector_typeIdLj2EEmmmm
	.p2align	8
	.type	_Z10initcdata2P15HIP_vector_typeIdLj2EEmmmm,@function
_Z10initcdata2P15HIP_vector_typeIdLj2EEmmmm: ; @_Z10initcdata2P15HIP_vector_typeIdLj2EEmmmm
; %bb.0:
	s_load_dword s0, s[4:5], 0x34
	s_load_dwordx8 s[8:15], s[4:5], 0x0
	v_mov_b32_e32 v3, 0
	s_waitcnt lgkmcnt(0)
	s_lshr_b32 s1, s0, 16
	s_and_b32 s0, s0, 0xffff
	s_mul_i32 s6, s6, s0
	s_mul_i32 s7, s7, s1
	v_add_u32_e32 v2, s6, v0
	v_add_u32_e32 v0, s7, v1
	v_mov_b32_e32 v1, v3
	v_cmp_gt_u64_e32 vcc, s[10:11], v[2:3]
	v_cmp_gt_u64_e64 s[0:1], s[12:13], v[0:1]
	s_and_b64 s[0:1], vcc, s[0:1]
	s_and_saveexec_b64 s[2:3], s[0:1]
	s_cbranch_execz .LBB4_2
; %bb.1:
	s_load_dwordx2 s[0:1], s[4:5], 0x20
	v_mad_u64_u32 v[3:4], s[2:3], s14, v2, 0
	v_mov_b32_e32 v1, v4
	s_waitcnt lgkmcnt(0)
	v_mad_u64_u32 v[5:6], s[2:3], s0, v0, 0
	v_mad_u64_u32 v[7:8], s[2:3], s15, v2, v[1:2]
	v_mov_b32_e32 v1, v6
	v_mad_u64_u32 v[8:9], s[0:1], s1, v0, v[1:2]
	v_mov_b32_e32 v4, v7
	v_lshlrev_b64 v[3:4], 4, v[3:4]
	v_add_u32_e32 v1, 1, v2
	v_mov_b32_e32 v6, v8
	v_mov_b32_e32 v7, s9
	v_add_co_u32_e32 v8, vcc, s8, v3
	v_add_u32_e32 v0, 1, v0
	v_cvt_f64_u32_e32 v[1:2], v1
	v_addc_co_u32_e32 v7, vcc, v7, v4, vcc
	v_lshlrev_b64 v[5:6], 4, v[5:6]
	v_cvt_f64_u32_e32 v[3:4], v0
	v_add_co_u32_e32 v5, vcc, v8, v5
	v_addc_co_u32_e32 v6, vcc, v7, v6, vcc
	global_store_dwordx4 v[5:6], v[1:4], off
.LBB4_2:
	s_endpgm
	.section	.rodata,"a",@progbits
	.p2align	6, 0x0
	.amdhsa_kernel _Z10initcdata2P15HIP_vector_typeIdLj2EEmmmm
		.amdhsa_group_segment_fixed_size 0
		.amdhsa_private_segment_fixed_size 0
		.amdhsa_kernarg_size 296
		.amdhsa_user_sgpr_count 6
		.amdhsa_user_sgpr_private_segment_buffer 1
		.amdhsa_user_sgpr_dispatch_ptr 0
		.amdhsa_user_sgpr_queue_ptr 0
		.amdhsa_user_sgpr_kernarg_segment_ptr 1
		.amdhsa_user_sgpr_dispatch_id 0
		.amdhsa_user_sgpr_flat_scratch_init 0
		.amdhsa_user_sgpr_private_segment_size 0
		.amdhsa_uses_dynamic_stack 0
		.amdhsa_system_sgpr_private_segment_wavefront_offset 0
		.amdhsa_system_sgpr_workgroup_id_x 1
		.amdhsa_system_sgpr_workgroup_id_y 1
		.amdhsa_system_sgpr_workgroup_id_z 0
		.amdhsa_system_sgpr_workgroup_info 0
		.amdhsa_system_vgpr_workitem_id 1
		.amdhsa_next_free_vgpr 10
		.amdhsa_next_free_sgpr 16
		.amdhsa_reserve_vcc 1
		.amdhsa_reserve_flat_scratch 0
		.amdhsa_float_round_mode_32 0
		.amdhsa_float_round_mode_16_64 0
		.amdhsa_float_denorm_mode_32 3
		.amdhsa_float_denorm_mode_16_64 3
		.amdhsa_dx10_clamp 1
		.amdhsa_ieee_mode 1
		.amdhsa_fp16_overflow 0
		.amdhsa_exception_fp_ieee_invalid_op 0
		.amdhsa_exception_fp_denorm_src 0
		.amdhsa_exception_fp_ieee_div_zero 0
		.amdhsa_exception_fp_ieee_overflow 0
		.amdhsa_exception_fp_ieee_underflow 0
		.amdhsa_exception_fp_ieee_inexact 0
		.amdhsa_exception_int_div_zero 0
	.end_amdhsa_kernel
	.text
.Lfunc_end4:
	.size	_Z10initcdata2P15HIP_vector_typeIdLj2EEmmmm, .Lfunc_end4-_Z10initcdata2P15HIP_vector_typeIdLj2EEmmmm
                                        ; -- End function
	.set _Z10initcdata2P15HIP_vector_typeIdLj2EEmmmm.num_vgpr, 10
	.set _Z10initcdata2P15HIP_vector_typeIdLj2EEmmmm.num_agpr, 0
	.set _Z10initcdata2P15HIP_vector_typeIdLj2EEmmmm.numbered_sgpr, 16
	.set _Z10initcdata2P15HIP_vector_typeIdLj2EEmmmm.num_named_barrier, 0
	.set _Z10initcdata2P15HIP_vector_typeIdLj2EEmmmm.private_seg_size, 0
	.set _Z10initcdata2P15HIP_vector_typeIdLj2EEmmmm.uses_vcc, 1
	.set _Z10initcdata2P15HIP_vector_typeIdLj2EEmmmm.uses_flat_scratch, 0
	.set _Z10initcdata2P15HIP_vector_typeIdLj2EEmmmm.has_dyn_sized_stack, 0
	.set _Z10initcdata2P15HIP_vector_typeIdLj2EEmmmm.has_recursion, 0
	.set _Z10initcdata2P15HIP_vector_typeIdLj2EEmmmm.has_indirect_call, 0
	.section	.AMDGPU.csdata,"",@progbits
; Kernel info:
; codeLenInByte = 204
; TotalNumSgprs: 20
; NumVgprs: 10
; ScratchSize: 0
; MemoryBound: 0
; FloatMode: 240
; IeeeMode: 1
; LDSByteSize: 0 bytes/workgroup (compile time only)
; SGPRBlocks: 2
; VGPRBlocks: 2
; NumSGPRsForWavesPerEU: 20
; NumVGPRsForWavesPerEU: 10
; Occupancy: 10
; WaveLimiterHint : 0
; COMPUTE_PGM_RSRC2:SCRATCH_EN: 0
; COMPUTE_PGM_RSRC2:USER_SGPR: 6
; COMPUTE_PGM_RSRC2:TRAP_HANDLER: 0
; COMPUTE_PGM_RSRC2:TGID_X_EN: 1
; COMPUTE_PGM_RSRC2:TGID_Y_EN: 1
; COMPUTE_PGM_RSRC2:TGID_Z_EN: 0
; COMPUTE_PGM_RSRC2:TIDIG_COMP_CNT: 1
	.text
	.protected	_Z10initcdata3P15HIP_vector_typeIdLj2EEmmmmmm ; -- Begin function _Z10initcdata3P15HIP_vector_typeIdLj2EEmmmmmm
	.globl	_Z10initcdata3P15HIP_vector_typeIdLj2EEmmmmmm
	.p2align	8
	.type	_Z10initcdata3P15HIP_vector_typeIdLj2EEmmmmmm,@function
_Z10initcdata3P15HIP_vector_typeIdLj2EEmmmmmm: ; @_Z10initcdata3P15HIP_vector_typeIdLj2EEmmmmmm
; %bb.0:
	s_load_dwordx2 s[0:1], s[4:5], 0x44
	s_load_dwordx8 s[12:19], s[4:5], 0x0
	v_mov_b32_e32 v4, 0
	v_mov_b32_e32 v6, v4
	s_waitcnt lgkmcnt(0)
	s_lshr_b32 s2, s0, 16
	s_and_b32 s0, s0, 0xffff
	s_and_b32 s1, s1, 0xffff
	s_mul_i32 s6, s6, s0
	s_mul_i32 s7, s7, s2
	v_add_u32_e32 v3, s6, v0
	v_add_u32_e32 v0, s7, v1
	v_mov_b32_e32 v1, v4
	s_mul_i32 s8, s8, s1
	v_add_u32_e32 v5, s8, v2
	v_cmp_gt_u64_e32 vcc, s[14:15], v[3:4]
	v_cmp_gt_u64_e64 s[0:1], s[16:17], v[0:1]
	v_cmp_gt_u64_e64 s[2:3], s[18:19], v[5:6]
	s_and_b64 s[0:1], vcc, s[0:1]
	s_and_b64 s[0:1], s[0:1], s[2:3]
	s_and_saveexec_b64 s[2:3], s[0:1]
	s_cbranch_execz .LBB5_2
; %bb.1:
	s_load_dwordx8 s[16:23], s[4:5], 0x20
	v_mov_b32_e32 v13, s13
	s_waitcnt lgkmcnt(0)
	v_mad_u64_u32 v[6:7], s[0:1], s16, v3, 0
	v_mad_u64_u32 v[8:9], s[0:1], s18, v0, 0
	v_mov_b32_e32 v1, v7
	v_mov_b32_e32 v2, v9
	v_mad_u64_u32 v[9:10], s[0:1], s17, v3, v[1:2]
	v_mad_u64_u32 v[1:2], s[0:1], s19, v0, v[2:3]
	;; [unrolled: 1-line block ×3, first 2 shown]
	v_mov_b32_e32 v7, v9
	v_mov_b32_e32 v9, v1
	v_cvt_f64_u32_e32 v[1:2], v3
	v_cvt_f64_u32_e32 v[3:4], v5
	s_mov_b32 s0, 0
	s_mov_b32 s1, 0x40240000
	v_lshlrev_b64 v[8:9], 4, v[8:9]
	v_fma_f64 v[1:2], v[3:4], s[0:1], v[1:2]
	v_mad_u64_u32 v[3:4], s[0:1], s21, v5, v[11:12]
	v_add_co_u32_e32 v12, vcc, 10, v0
	v_addc_co_u32_e64 v0, s[0:1], 0, 0, vcc
	v_cvt_f64_u32_e32 v[4:5], v0
	v_mov_b32_e32 v11, v3
	v_add_f64 v[0:1], v[1:2], 1.0
	v_lshlrev_b64 v[2:3], 4, v[6:7]
	v_ldexp_f64 v[4:5], v[4:5], 32
	v_cvt_f64_u32_e32 v[6:7], v12
	v_add_co_u32_e32 v12, vcc, s12, v2
	v_addc_co_u32_e32 v13, vcc, v13, v3, vcc
	v_add_f64 v[2:3], v[4:5], v[6:7]
	v_add_co_u32_e32 v6, vcc, v12, v8
	v_lshlrev_b64 v[4:5], 4, v[10:11]
	v_addc_co_u32_e32 v7, vcc, v13, v9, vcc
	v_add_co_u32_e32 v4, vcc, v6, v4
	v_addc_co_u32_e32 v5, vcc, v7, v5, vcc
	global_store_dwordx4 v[4:5], v[0:3], off
.LBB5_2:
	s_endpgm
	.section	.rodata,"a",@progbits
	.p2align	6, 0x0
	.amdhsa_kernel _Z10initcdata3P15HIP_vector_typeIdLj2EEmmmmmm
		.amdhsa_group_segment_fixed_size 0
		.amdhsa_private_segment_fixed_size 0
		.amdhsa_kernarg_size 312
		.amdhsa_user_sgpr_count 6
		.amdhsa_user_sgpr_private_segment_buffer 1
		.amdhsa_user_sgpr_dispatch_ptr 0
		.amdhsa_user_sgpr_queue_ptr 0
		.amdhsa_user_sgpr_kernarg_segment_ptr 1
		.amdhsa_user_sgpr_dispatch_id 0
		.amdhsa_user_sgpr_flat_scratch_init 0
		.amdhsa_user_sgpr_private_segment_size 0
		.amdhsa_uses_dynamic_stack 0
		.amdhsa_system_sgpr_private_segment_wavefront_offset 0
		.amdhsa_system_sgpr_workgroup_id_x 1
		.amdhsa_system_sgpr_workgroup_id_y 1
		.amdhsa_system_sgpr_workgroup_id_z 1
		.amdhsa_system_sgpr_workgroup_info 0
		.amdhsa_system_vgpr_workitem_id 2
		.amdhsa_next_free_vgpr 14
		.amdhsa_next_free_sgpr 24
		.amdhsa_reserve_vcc 1
		.amdhsa_reserve_flat_scratch 0
		.amdhsa_float_round_mode_32 0
		.amdhsa_float_round_mode_16_64 0
		.amdhsa_float_denorm_mode_32 3
		.amdhsa_float_denorm_mode_16_64 3
		.amdhsa_dx10_clamp 1
		.amdhsa_ieee_mode 1
		.amdhsa_fp16_overflow 0
		.amdhsa_exception_fp_ieee_invalid_op 0
		.amdhsa_exception_fp_denorm_src 0
		.amdhsa_exception_fp_ieee_div_zero 0
		.amdhsa_exception_fp_ieee_overflow 0
		.amdhsa_exception_fp_ieee_underflow 0
		.amdhsa_exception_fp_ieee_inexact 0
		.amdhsa_exception_int_div_zero 0
	.end_amdhsa_kernel
	.text
.Lfunc_end5:
	.size	_Z10initcdata3P15HIP_vector_typeIdLj2EEmmmmmm, .Lfunc_end5-_Z10initcdata3P15HIP_vector_typeIdLj2EEmmmmmm
                                        ; -- End function
	.set _Z10initcdata3P15HIP_vector_typeIdLj2EEmmmmmm.num_vgpr, 14
	.set _Z10initcdata3P15HIP_vector_typeIdLj2EEmmmmmm.num_agpr, 0
	.set _Z10initcdata3P15HIP_vector_typeIdLj2EEmmmmmm.numbered_sgpr, 24
	.set _Z10initcdata3P15HIP_vector_typeIdLj2EEmmmmmm.num_named_barrier, 0
	.set _Z10initcdata3P15HIP_vector_typeIdLj2EEmmmmmm.private_seg_size, 0
	.set _Z10initcdata3P15HIP_vector_typeIdLj2EEmmmmmm.uses_vcc, 1
	.set _Z10initcdata3P15HIP_vector_typeIdLj2EEmmmmmm.uses_flat_scratch, 0
	.set _Z10initcdata3P15HIP_vector_typeIdLj2EEmmmmmm.has_dyn_sized_stack, 0
	.set _Z10initcdata3P15HIP_vector_typeIdLj2EEmmmmmm.has_recursion, 0
	.set _Z10initcdata3P15HIP_vector_typeIdLj2EEmmmmmm.has_indirect_call, 0
	.section	.AMDGPU.csdata,"",@progbits
; Kernel info:
; codeLenInByte = 328
; TotalNumSgprs: 28
; NumVgprs: 14
; ScratchSize: 0
; MemoryBound: 0
; FloatMode: 240
; IeeeMode: 1
; LDSByteSize: 0 bytes/workgroup (compile time only)
; SGPRBlocks: 3
; VGPRBlocks: 3
; NumSGPRsForWavesPerEU: 28
; NumVGPRsForWavesPerEU: 14
; Occupancy: 10
; WaveLimiterHint : 0
; COMPUTE_PGM_RSRC2:SCRATCH_EN: 0
; COMPUTE_PGM_RSRC2:USER_SGPR: 6
; COMPUTE_PGM_RSRC2:TRAP_HANDLER: 0
; COMPUTE_PGM_RSRC2:TGID_X_EN: 1
; COMPUTE_PGM_RSRC2:TGID_Y_EN: 1
; COMPUTE_PGM_RSRC2:TGID_Z_EN: 1
; COMPUTE_PGM_RSRC2:TIDIG_COMP_CNT: 2
	.section	.text._ZL47impose_hermitian_symmetry_interleaved_1D_kernelI15HIP_vector_typeIdLj2EEEvPT_mmmmb,"axG",@progbits,_ZL47impose_hermitian_symmetry_interleaved_1D_kernelI15HIP_vector_typeIdLj2EEEvPT_mmmmb,comdat
	.globl	_ZL47impose_hermitian_symmetry_interleaved_1D_kernelI15HIP_vector_typeIdLj2EEEvPT_mmmmb ; -- Begin function _ZL47impose_hermitian_symmetry_interleaved_1D_kernelI15HIP_vector_typeIdLj2EEEvPT_mmmmb
	.p2align	8
	.type	_ZL47impose_hermitian_symmetry_interleaved_1D_kernelI15HIP_vector_typeIdLj2EEEvPT_mmmmb,@function
_ZL47impose_hermitian_symmetry_interleaved_1D_kernelI15HIP_vector_typeIdLj2EEEvPT_mmmmb: ; @_ZL47impose_hermitian_symmetry_interleaved_1D_kernelI15HIP_vector_typeIdLj2EEEvPT_mmmmb
; %bb.0:
	s_load_dword s2, s[4:5], 0x3c
	s_load_dwordx2 s[0:1], s[4:5], 0x20
	s_waitcnt lgkmcnt(0)
	s_and_b32 s2, s2, 0xffff
	s_mul_i32 s6, s6, s2
	v_add_co_u32_e32 v0, vcc, s6, v0
	v_addc_co_u32_e64 v1, s[2:3], 0, 0, vcc
	v_cmp_gt_u64_e32 vcc, s[0:1], v[0:1]
	s_and_saveexec_b64 s[0:1], vcc
	s_cbranch_execz .LBB6_3
; %bb.1:
	s_load_dwordx8 s[8:15], s[4:5], 0x0
	s_waitcnt lgkmcnt(0)
	v_mul_lo_u32 v2, v1, s14
	v_mul_lo_u32 v3, v0, s15
	v_mad_u64_u32 v[0:1], s[0:1], v0, s14, 0
	s_load_dword s0, s[4:5], 0x28
	v_mov_b32_e32 v4, s9
	v_add3_u32 v1, v1, v3, v2
	v_lshlrev_b64 v[0:1], 4, v[0:1]
	v_mov_b32_e32 v2, 0
	v_add_co_u32_e32 v0, vcc, s8, v0
	v_addc_co_u32_e32 v1, vcc, v4, v1, vcc
	v_mov_b32_e32 v3, v2
	s_waitcnt lgkmcnt(0)
	s_bitcmp0_b32 s0, 0
	global_store_dwordx2 v[0:1], v[2:3], off offset:8
	s_cbranch_scc1 .LBB6_3
; %bb.2:
	s_lshr_b64 s[0:1], s[10:11], 1
	s_mul_i32 s1, s0, s13
	s_mul_hi_u32 s2, s0, s12
	s_add_i32 s1, s2, s1
	s_lshr_b32 s2, s11, 1
	s_mul_i32 s2, s2, s12
	s_add_i32 s1, s1, s2
	s_mul_i32 s0, s0, s12
	s_lshl_b64 s[0:1], s[0:1], 4
	v_mov_b32_e32 v4, s1
	v_add_co_u32_e32 v0, vcc, s0, v0
	v_addc_co_u32_e32 v1, vcc, v1, v4, vcc
	global_store_dwordx2 v[0:1], v[2:3], off offset:8
.LBB6_3:
	s_endpgm
	.section	.rodata,"a",@progbits
	.p2align	6, 0x0
	.amdhsa_kernel _ZL47impose_hermitian_symmetry_interleaved_1D_kernelI15HIP_vector_typeIdLj2EEEvPT_mmmmb
		.amdhsa_group_segment_fixed_size 0
		.amdhsa_private_segment_fixed_size 0
		.amdhsa_kernarg_size 304
		.amdhsa_user_sgpr_count 6
		.amdhsa_user_sgpr_private_segment_buffer 1
		.amdhsa_user_sgpr_dispatch_ptr 0
		.amdhsa_user_sgpr_queue_ptr 0
		.amdhsa_user_sgpr_kernarg_segment_ptr 1
		.amdhsa_user_sgpr_dispatch_id 0
		.amdhsa_user_sgpr_flat_scratch_init 0
		.amdhsa_user_sgpr_private_segment_size 0
		.amdhsa_uses_dynamic_stack 0
		.amdhsa_system_sgpr_private_segment_wavefront_offset 0
		.amdhsa_system_sgpr_workgroup_id_x 1
		.amdhsa_system_sgpr_workgroup_id_y 0
		.amdhsa_system_sgpr_workgroup_id_z 0
		.amdhsa_system_sgpr_workgroup_info 0
		.amdhsa_system_vgpr_workitem_id 0
		.amdhsa_next_free_vgpr 5
		.amdhsa_next_free_sgpr 16
		.amdhsa_reserve_vcc 1
		.amdhsa_reserve_flat_scratch 0
		.amdhsa_float_round_mode_32 0
		.amdhsa_float_round_mode_16_64 0
		.amdhsa_float_denorm_mode_32 3
		.amdhsa_float_denorm_mode_16_64 3
		.amdhsa_dx10_clamp 1
		.amdhsa_ieee_mode 1
		.amdhsa_fp16_overflow 0
		.amdhsa_exception_fp_ieee_invalid_op 0
		.amdhsa_exception_fp_denorm_src 0
		.amdhsa_exception_fp_ieee_div_zero 0
		.amdhsa_exception_fp_ieee_overflow 0
		.amdhsa_exception_fp_ieee_underflow 0
		.amdhsa_exception_fp_ieee_inexact 0
		.amdhsa_exception_int_div_zero 0
	.end_amdhsa_kernel
	.section	.text._ZL47impose_hermitian_symmetry_interleaved_1D_kernelI15HIP_vector_typeIdLj2EEEvPT_mmmmb,"axG",@progbits,_ZL47impose_hermitian_symmetry_interleaved_1D_kernelI15HIP_vector_typeIdLj2EEEvPT_mmmmb,comdat
.Lfunc_end6:
	.size	_ZL47impose_hermitian_symmetry_interleaved_1D_kernelI15HIP_vector_typeIdLj2EEEvPT_mmmmb, .Lfunc_end6-_ZL47impose_hermitian_symmetry_interleaved_1D_kernelI15HIP_vector_typeIdLj2EEEvPT_mmmmb
                                        ; -- End function
	.set _ZL47impose_hermitian_symmetry_interleaved_1D_kernelI15HIP_vector_typeIdLj2EEEvPT_mmmmb.num_vgpr, 5
	.set _ZL47impose_hermitian_symmetry_interleaved_1D_kernelI15HIP_vector_typeIdLj2EEEvPT_mmmmb.num_agpr, 0
	.set _ZL47impose_hermitian_symmetry_interleaved_1D_kernelI15HIP_vector_typeIdLj2EEEvPT_mmmmb.numbered_sgpr, 16
	.set _ZL47impose_hermitian_symmetry_interleaved_1D_kernelI15HIP_vector_typeIdLj2EEEvPT_mmmmb.num_named_barrier, 0
	.set _ZL47impose_hermitian_symmetry_interleaved_1D_kernelI15HIP_vector_typeIdLj2EEEvPT_mmmmb.private_seg_size, 0
	.set _ZL47impose_hermitian_symmetry_interleaved_1D_kernelI15HIP_vector_typeIdLj2EEEvPT_mmmmb.uses_vcc, 1
	.set _ZL47impose_hermitian_symmetry_interleaved_1D_kernelI15HIP_vector_typeIdLj2EEEvPT_mmmmb.uses_flat_scratch, 0
	.set _ZL47impose_hermitian_symmetry_interleaved_1D_kernelI15HIP_vector_typeIdLj2EEEvPT_mmmmb.has_dyn_sized_stack, 0
	.set _ZL47impose_hermitian_symmetry_interleaved_1D_kernelI15HIP_vector_typeIdLj2EEEvPT_mmmmb.has_recursion, 0
	.set _ZL47impose_hermitian_symmetry_interleaved_1D_kernelI15HIP_vector_typeIdLj2EEEvPT_mmmmb.has_indirect_call, 0
	.section	.AMDGPU.csdata,"",@progbits
; Kernel info:
; codeLenInByte = 216
; TotalNumSgprs: 20
; NumVgprs: 5
; ScratchSize: 0
; MemoryBound: 0
; FloatMode: 240
; IeeeMode: 1
; LDSByteSize: 0 bytes/workgroup (compile time only)
; SGPRBlocks: 2
; VGPRBlocks: 1
; NumSGPRsForWavesPerEU: 20
; NumVGPRsForWavesPerEU: 5
; Occupancy: 10
; WaveLimiterHint : 0
; COMPUTE_PGM_RSRC2:SCRATCH_EN: 0
; COMPUTE_PGM_RSRC2:USER_SGPR: 6
; COMPUTE_PGM_RSRC2:TRAP_HANDLER: 0
; COMPUTE_PGM_RSRC2:TGID_X_EN: 1
; COMPUTE_PGM_RSRC2:TGID_Y_EN: 0
; COMPUTE_PGM_RSRC2:TGID_Z_EN: 0
; COMPUTE_PGM_RSRC2:TIDIG_COMP_CNT: 0
	.section	.text._ZL47impose_hermitian_symmetry_interleaved_2D_kernelI15HIP_vector_typeIdLj2EEEvPT_mmmmmmmbb,"axG",@progbits,_ZL47impose_hermitian_symmetry_interleaved_2D_kernelI15HIP_vector_typeIdLj2EEEvPT_mmmmmmmbb,comdat
	.globl	_ZL47impose_hermitian_symmetry_interleaved_2D_kernelI15HIP_vector_typeIdLj2EEEvPT_mmmmmmmbb ; -- Begin function _ZL47impose_hermitian_symmetry_interleaved_2D_kernelI15HIP_vector_typeIdLj2EEEvPT_mmmmmmmbb
	.p2align	8
	.type	_ZL47impose_hermitian_symmetry_interleaved_2D_kernelI15HIP_vector_typeIdLj2EEEvPT_mmmmmmmbb,@function
_ZL47impose_hermitian_symmetry_interleaved_2D_kernelI15HIP_vector_typeIdLj2EEEvPT_mmmmmmmbb: ; @_ZL47impose_hermitian_symmetry_interleaved_2D_kernelI15HIP_vector_typeIdLj2EEEvPT_mmmmmmmbb
; %bb.0:
	s_load_dword s0, s[4:5], 0x54
	s_load_dwordx16 s[8:23], s[4:5], 0x0
	s_waitcnt lgkmcnt(0)
	s_and_b32 s1, s0, 0xffff
	s_mul_i32 s6, s6, s1
	v_add_co_u32_e32 v2, vcc, s6, v0
	v_addc_co_u32_e64 v3, s[2:3], 0, 0, vcc
	v_cmp_gt_u64_e32 vcc, s[20:21], v[2:3]
	s_and_saveexec_b64 s[2:3], vcc
	s_cbranch_execz .LBB7_8
; %bb.1:
	s_lshr_b32 s0, s0, 16
	s_mul_i32 s7, s7, s0
	v_mul_lo_u32 v0, v3, s18
	v_mul_lo_u32 v6, v2, s19
	v_mad_u64_u32 v[4:5], s[0:1], v2, s18, 0
	v_add_co_u32_e32 v2, vcc, s7, v1
	v_addc_co_u32_e64 v3, s[0:1], 0, 0, vcc
	v_add3_u32 v5, v5, v6, v0
	v_cmp_eq_u64_e32 vcc, 0, v[2:3]
	v_lshlrev_b64 v[0:1], 4, v[4:5]
	s_and_saveexec_b64 s[2:3], vcc
	s_cbranch_execz .LBB7_3
; %bb.2:
	v_mov_b32_e32 v5, s9
	v_add_co_u32_e64 v4, s[0:1], s8, v0
	v_mov_b32_e32 v6, 0
	v_addc_co_u32_e64 v5, s[0:1], v5, v1, s[0:1]
	v_mov_b32_e32 v7, v6
	global_store_dwordx2 v[4:5], v[6:7], off offset:8
.LBB7_3:
	s_or_b64 exec, exec, s[2:3]
	s_load_dword s6, s[4:5], 0x40
	s_waitcnt lgkmcnt(0)
	s_bitcmp1_b32 s6, 0
	s_cselect_b64 s[0:1], -1, 0
	s_and_b64 s[2:3], s[0:1], vcc
	s_and_saveexec_b64 s[4:5], s[2:3]
	s_cbranch_execz .LBB7_5
; %bb.4:
	s_lshr_b64 s[0:1], s[10:11], 1
	s_lshr_b32 s1, s11, 1
	s_mul_i32 s1, s14, s1
	s_mul_hi_u32 s7, s14, s0
	s_add_i32 s1, s7, s1
	s_mul_i32 s7, s15, s0
	s_add_i32 s19, s1, s7
	s_mul_i32 s18, s14, s0
	v_mov_b32_e32 v4, s9
	v_add_co_u32_e64 v5, s[0:1], s8, v0
	v_addc_co_u32_e64 v6, s[0:1], v4, v1, s[0:1]
	s_lshl_b64 s[0:1], s[18:19], 4
	v_mov_b32_e32 v7, s1
	v_add_co_u32_e64 v4, s[0:1], s0, v5
	v_addc_co_u32_e64 v5, s[0:1], v6, v7, s[0:1]
	v_mov_b32_e32 v6, 0
	v_mov_b32_e32 v7, v6
	global_store_dwordx2 v[4:5], v[6:7], off offset:8
.LBB7_5:
	s_or_b64 exec, exec, s[4:5]
	s_bitcmp1_b32 s6, 8
	s_cselect_b64 s[0:1], -1, 0
	s_and_b64 s[6:7], s[0:1], vcc
	s_and_saveexec_b64 s[4:5], s[6:7]
	s_cbranch_execnz .LBB7_9
; %bb.6:
	s_or_b64 exec, exec, s[4:5]
	s_and_b64 s[4:5], s[0:1], s[2:3]
	s_and_saveexec_b64 s[2:3], s[4:5]
	s_cbranch_execnz .LBB7_10
.LBB7_7:
	s_or_b64 exec, exec, s[2:3]
	v_cmp_gt_u64_e32 vcc, s[22:23], v[2:3]
	s_and_b64 exec, exec, vcc
	s_cbranch_execnz .LBB7_11
.LBB7_8:
	s_endpgm
.LBB7_9:
	s_lshr_b64 s[6:7], s[12:13], 1
	s_lshr_b32 s7, s13, 1
	s_mul_i32 s7, s16, s7
	s_mul_hi_u32 s18, s16, s6
	s_add_i32 s7, s18, s7
	s_mul_i32 s18, s17, s6
	s_add_i32 s7, s7, s18
	s_mul_i32 s6, s16, s6
	v_mov_b32_e32 v4, s9
	v_add_co_u32_e32 v5, vcc, s8, v0
	v_addc_co_u32_e32 v6, vcc, v4, v1, vcc
	s_lshl_b64 s[6:7], s[6:7], 4
	v_mov_b32_e32 v7, s7
	v_add_co_u32_e32 v4, vcc, s6, v5
	v_addc_co_u32_e32 v5, vcc, v6, v7, vcc
	v_mov_b32_e32 v6, 0
	v_mov_b32_e32 v7, v6
	global_store_dwordx2 v[4:5], v[6:7], off offset:8
	s_or_b64 exec, exec, s[4:5]
	s_and_b64 s[4:5], s[0:1], s[2:3]
	s_and_saveexec_b64 s[2:3], s[4:5]
	s_cbranch_execz .LBB7_7
.LBB7_10:
	s_lshr_b64 s[4:5], s[10:11], 1
	s_lshr_b32 s5, s11, 1
	s_mul_i32 s5, s14, s5
	s_mul_hi_u32 s6, s14, s4
	s_add_i32 s5, s6, s5
	s_mul_i32 s6, s15, s4
	s_add_i32 s5, s5, s6
	s_lshr_b64 s[6:7], s[12:13], 1
	s_lshr_b32 s7, s13, 1
	s_mul_i32 s4, s14, s4
	s_mul_i32 s7, s16, s7
	s_mul_hi_u32 s18, s16, s6
	v_mov_b32_e32 v4, s9
	v_add_co_u32_e32 v5, vcc, s8, v0
	s_add_i32 s7, s18, s7
	s_mul_i32 s18, s17, s6
	v_addc_co_u32_e32 v4, vcc, v4, v1, vcc
	s_lshl_b64 s[4:5], s[4:5], 4
	s_add_i32 s7, s7, s18
	s_mul_i32 s6, s16, s6
	v_mov_b32_e32 v6, s5
	v_add_co_u32_e32 v5, vcc, s4, v5
	v_addc_co_u32_e32 v6, vcc, v4, v6, vcc
	s_lshl_b64 s[4:5], s[6:7], 4
	v_mov_b32_e32 v7, s5
	v_add_co_u32_e32 v4, vcc, s4, v5
	v_addc_co_u32_e32 v5, vcc, v6, v7, vcc
	v_mov_b32_e32 v6, 0
	v_mov_b32_e32 v7, v6
	global_store_dwordx2 v[4:5], v[6:7], off offset:8
	s_or_b64 exec, exec, s[2:3]
	v_cmp_gt_u64_e32 vcc, s[22:23], v[2:3]
	s_and_b64 exec, exec, vcc
	s_cbranch_execz .LBB7_8
.LBB7_11:
	v_add_co_u32_e32 v8, vcc, 1, v2
	v_addc_co_u32_e32 v9, vcc, 0, v3, vcc
	v_mul_lo_u32 v4, v9, s14
	v_mul_lo_u32 v5, v8, s15
	v_mad_u64_u32 v[2:3], s[2:3], v8, s14, 0
	v_mov_b32_e32 v10, s11
	v_mov_b32_e32 v12, s9
	v_add3_u32 v3, v3, v5, v4
	v_lshlrev_b64 v[2:3], 4, v[2:3]
	v_mov_b32_e32 v4, s9
	v_add_co_u32_e32 v2, vcc, s8, v2
	v_addc_co_u32_e32 v3, vcc, v4, v3, vcc
	v_add_co_u32_e32 v2, vcc, v2, v0
	v_addc_co_u32_e32 v3, vcc, v3, v1, vcc
	global_load_dwordx4 v[4:7], v[2:3], off
	v_sub_co_u32_e32 v8, vcc, s10, v8
	v_subb_co_u32_e32 v9, vcc, v10, v9, vcc
	v_mul_lo_u32 v10, v9, s14
	v_mul_lo_u32 v11, v8, s15
	v_mad_u64_u32 v[8:9], s[2:3], v8, s14, 0
	v_add3_u32 v9, v9, v11, v10
	v_lshlrev_b64 v[8:9], 4, v[8:9]
	v_add_co_u32_e32 v8, vcc, s8, v8
	v_addc_co_u32_e32 v9, vcc, v12, v9, vcc
	v_add_co_u32_e32 v0, vcc, v8, v0
	v_addc_co_u32_e32 v1, vcc, v9, v1, vcc
	s_andn2_b64 vcc, exec, s[0:1]
	s_waitcnt vmcnt(0)
	v_xor_b32_e32 v7, 0x80000000, v7
	global_store_dwordx4 v[0:1], v[4:7], off
	s_cbranch_vccnz .LBB7_8
; %bb.12:
	s_lshr_b64 s[0:1], s[12:13], 1
	s_lshr_b32 s1, s13, 1
	s_mul_i32 s1, s16, s1
	s_mul_hi_u32 s2, s16, s0
	s_add_i32 s1, s2, s1
	s_mul_i32 s2, s17, s0
	s_add_i32 s1, s1, s2
	s_mul_i32 s0, s16, s0
	s_lshl_b64 s[0:1], s[0:1], 4
	v_mov_b32_e32 v6, s1
	v_add_co_u32_e32 v2, vcc, s0, v2
	v_addc_co_u32_e32 v3, vcc, v3, v6, vcc
	global_load_dwordx4 v[2:5], v[2:3], off
	v_add_co_u32_e32 v0, vcc, s0, v0
	v_addc_co_u32_e32 v1, vcc, v1, v6, vcc
	s_waitcnt vmcnt(0)
	v_xor_b32_e32 v5, 0x80000000, v5
	global_store_dwordx4 v[0:1], v[2:5], off
	s_endpgm
	.section	.rodata,"a",@progbits
	.p2align	6, 0x0
	.amdhsa_kernel _ZL47impose_hermitian_symmetry_interleaved_2D_kernelI15HIP_vector_typeIdLj2EEEvPT_mmmmmmmbb
		.amdhsa_group_segment_fixed_size 0
		.amdhsa_private_segment_fixed_size 0
		.amdhsa_kernarg_size 328
		.amdhsa_user_sgpr_count 6
		.amdhsa_user_sgpr_private_segment_buffer 1
		.amdhsa_user_sgpr_dispatch_ptr 0
		.amdhsa_user_sgpr_queue_ptr 0
		.amdhsa_user_sgpr_kernarg_segment_ptr 1
		.amdhsa_user_sgpr_dispatch_id 0
		.amdhsa_user_sgpr_flat_scratch_init 0
		.amdhsa_user_sgpr_private_segment_size 0
		.amdhsa_uses_dynamic_stack 0
		.amdhsa_system_sgpr_private_segment_wavefront_offset 0
		.amdhsa_system_sgpr_workgroup_id_x 1
		.amdhsa_system_sgpr_workgroup_id_y 1
		.amdhsa_system_sgpr_workgroup_id_z 0
		.amdhsa_system_sgpr_workgroup_info 0
		.amdhsa_system_vgpr_workitem_id 1
		.amdhsa_next_free_vgpr 13
		.amdhsa_next_free_sgpr 24
		.amdhsa_reserve_vcc 1
		.amdhsa_reserve_flat_scratch 0
		.amdhsa_float_round_mode_32 0
		.amdhsa_float_round_mode_16_64 0
		.amdhsa_float_denorm_mode_32 3
		.amdhsa_float_denorm_mode_16_64 3
		.amdhsa_dx10_clamp 1
		.amdhsa_ieee_mode 1
		.amdhsa_fp16_overflow 0
		.amdhsa_exception_fp_ieee_invalid_op 0
		.amdhsa_exception_fp_denorm_src 0
		.amdhsa_exception_fp_ieee_div_zero 0
		.amdhsa_exception_fp_ieee_overflow 0
		.amdhsa_exception_fp_ieee_underflow 0
		.amdhsa_exception_fp_ieee_inexact 0
		.amdhsa_exception_int_div_zero 0
	.end_amdhsa_kernel
	.section	.text._ZL47impose_hermitian_symmetry_interleaved_2D_kernelI15HIP_vector_typeIdLj2EEEvPT_mmmmmmmbb,"axG",@progbits,_ZL47impose_hermitian_symmetry_interleaved_2D_kernelI15HIP_vector_typeIdLj2EEEvPT_mmmmmmmbb,comdat
.Lfunc_end7:
	.size	_ZL47impose_hermitian_symmetry_interleaved_2D_kernelI15HIP_vector_typeIdLj2EEEvPT_mmmmmmmbb, .Lfunc_end7-_ZL47impose_hermitian_symmetry_interleaved_2D_kernelI15HIP_vector_typeIdLj2EEEvPT_mmmmmmmbb
                                        ; -- End function
	.set _ZL47impose_hermitian_symmetry_interleaved_2D_kernelI15HIP_vector_typeIdLj2EEEvPT_mmmmmmmbb.num_vgpr, 13
	.set _ZL47impose_hermitian_symmetry_interleaved_2D_kernelI15HIP_vector_typeIdLj2EEEvPT_mmmmmmmbb.num_agpr, 0
	.set _ZL47impose_hermitian_symmetry_interleaved_2D_kernelI15HIP_vector_typeIdLj2EEEvPT_mmmmmmmbb.numbered_sgpr, 24
	.set _ZL47impose_hermitian_symmetry_interleaved_2D_kernelI15HIP_vector_typeIdLj2EEEvPT_mmmmmmmbb.num_named_barrier, 0
	.set _ZL47impose_hermitian_symmetry_interleaved_2D_kernelI15HIP_vector_typeIdLj2EEEvPT_mmmmmmmbb.private_seg_size, 0
	.set _ZL47impose_hermitian_symmetry_interleaved_2D_kernelI15HIP_vector_typeIdLj2EEEvPT_mmmmmmmbb.uses_vcc, 1
	.set _ZL47impose_hermitian_symmetry_interleaved_2D_kernelI15HIP_vector_typeIdLj2EEEvPT_mmmmmmmbb.uses_flat_scratch, 0
	.set _ZL47impose_hermitian_symmetry_interleaved_2D_kernelI15HIP_vector_typeIdLj2EEEvPT_mmmmmmmbb.has_dyn_sized_stack, 0
	.set _ZL47impose_hermitian_symmetry_interleaved_2D_kernelI15HIP_vector_typeIdLj2EEEvPT_mmmmmmmbb.has_recursion, 0
	.set _ZL47impose_hermitian_symmetry_interleaved_2D_kernelI15HIP_vector_typeIdLj2EEEvPT_mmmmmmmbb.has_indirect_call, 0
	.section	.AMDGPU.csdata,"",@progbits
; Kernel info:
; codeLenInByte = 848
; TotalNumSgprs: 28
; NumVgprs: 13
; ScratchSize: 0
; MemoryBound: 0
; FloatMode: 240
; IeeeMode: 1
; LDSByteSize: 0 bytes/workgroup (compile time only)
; SGPRBlocks: 3
; VGPRBlocks: 3
; NumSGPRsForWavesPerEU: 28
; NumVGPRsForWavesPerEU: 13
; Occupancy: 10
; WaveLimiterHint : 0
; COMPUTE_PGM_RSRC2:SCRATCH_EN: 0
; COMPUTE_PGM_RSRC2:USER_SGPR: 6
; COMPUTE_PGM_RSRC2:TRAP_HANDLER: 0
; COMPUTE_PGM_RSRC2:TGID_X_EN: 1
; COMPUTE_PGM_RSRC2:TGID_Y_EN: 1
; COMPUTE_PGM_RSRC2:TGID_Z_EN: 0
; COMPUTE_PGM_RSRC2:TIDIG_COMP_CNT: 1
	.section	.text._ZL47impose_hermitian_symmetry_interleaved_3D_kernelI15HIP_vector_typeIdLj2EEEvPT_mmmmmmmmmmmbbb,"axG",@progbits,_ZL47impose_hermitian_symmetry_interleaved_3D_kernelI15HIP_vector_typeIdLj2EEEvPT_mmmmmmmmmmmbbb,comdat
	.globl	_ZL47impose_hermitian_symmetry_interleaved_3D_kernelI15HIP_vector_typeIdLj2EEEvPT_mmmmmmmmmmmbbb ; -- Begin function _ZL47impose_hermitian_symmetry_interleaved_3D_kernelI15HIP_vector_typeIdLj2EEEvPT_mmmmmmmmmmmbbb
	.p2align	8
	.type	_ZL47impose_hermitian_symmetry_interleaved_3D_kernelI15HIP_vector_typeIdLj2EEEvPT_mmmmmmmmmmmbbb,@function
_ZL47impose_hermitian_symmetry_interleaved_3D_kernelI15HIP_vector_typeIdLj2EEEvPT_mmmmmmmmmmmbbb: ; @_ZL47impose_hermitian_symmetry_interleaved_3D_kernelI15HIP_vector_typeIdLj2EEEvPT_mmmmmmmmmmmbbb
; %bb.0:
	s_load_dword s0, s[4:5], 0x74
	s_load_dwordx8 s[36:43], s[4:5], 0x40
	s_waitcnt lgkmcnt(0)
	s_and_b32 s1, s0, 0xffff
	s_mul_i32 s6, s6, s1
	v_add_co_u32_e32 v6, vcc, s6, v0
	v_addc_co_u32_e64 v7, s[2:3], 0, 0, vcc
	v_cmp_gt_u64_e32 vcc, s[36:37], v[6:7]
	s_and_saveexec_b64 s[2:3], vcc
	s_cbranch_execz .LBB8_34
; %bb.1:
	s_load_dword s1, s[4:5], 0x78
	s_load_dwordx16 s[12:27], s[4:5], 0x0
	s_lshr_b32 s0, s0, 16
	s_mul_i32 s7, s7, s0
	v_add_co_u32_e32 v4, vcc, s7, v1
	s_waitcnt lgkmcnt(0)
	s_and_b32 s2, s1, 0xffff
	v_addc_co_u32_e64 v5, s[0:1], 0, 0, vcc
	s_and_b32 s0, s2, 0xffff
	s_mul_i32 s8, s8, s0
	v_mul_lo_u32 v8, v7, s26
	v_mul_lo_u32 v9, v6, s27
	v_mad_u64_u32 v[6:7], s[0:1], v6, s26, 0
	v_add_co_u32_e32 v2, vcc, s8, v2
	v_addc_co_u32_e64 v3, s[0:1], 0, 0, vcc
	v_or_b32_e32 v1, v5, v3
	v_or_b32_e32 v0, v4, v2
	v_add3_u32 v7, v7, v9, v8
	v_cmp_eq_u64_e64 s[0:1], 0, v[4:5]
	v_cmp_eq_u64_e32 vcc, 0, v[2:3]
	v_cmp_eq_u64_e64 s[2:3], 0, v[0:1]
	v_lshlrev_b64 v[0:1], 4, v[6:7]
	s_and_saveexec_b64 s[8:9], s[2:3]
	s_cbranch_execz .LBB8_3
; %bb.2:
	v_mov_b32_e32 v7, s13
	v_add_co_u32_e64 v6, s[6:7], s12, v0
	v_mov_b32_e32 v8, 0
	v_addc_co_u32_e64 v7, s[6:7], v7, v1, s[6:7]
	v_mov_b32_e32 v9, v8
	global_store_dwordx2 v[6:7], v[8:9], off offset:8
.LBB8_3:
	s_or_b64 exec, exec, s[8:9]
	s_load_dword s8, s[4:5], 0x60
	s_waitcnt lgkmcnt(0)
	s_bitcmp1_b32 s8, 0
	s_cselect_b64 s[26:27], -1, 0
	s_and_b64 s[4:5], s[26:27], s[2:3]
	s_and_saveexec_b64 s[6:7], s[4:5]
	s_cbranch_execz .LBB8_5
; %bb.4:
	s_lshr_b64 s[4:5], s[14:15], 1
	s_lshr_b32 s5, s15, 1
	s_mul_i32 s5, s20, s5
	s_mul_hi_u32 s9, s20, s4
	s_add_i32 s5, s9, s5
	s_mul_i32 s9, s21, s4
	s_add_i32 s11, s5, s9
	s_mul_i32 s10, s20, s4
	v_mov_b32_e32 v6, s13
	v_add_co_u32_e64 v7, s[4:5], s12, v0
	v_addc_co_u32_e64 v8, s[4:5], v6, v1, s[4:5]
	s_lshl_b64 s[4:5], s[10:11], 4
	v_mov_b32_e32 v9, s5
	v_add_co_u32_e64 v6, s[4:5], s4, v7
	v_addc_co_u32_e64 v7, s[4:5], v8, v9, s[4:5]
	v_mov_b32_e32 v8, 0
	v_mov_b32_e32 v9, v8
	global_store_dwordx2 v[6:7], v[8:9], off offset:8
.LBB8_5:
	s_or_b64 exec, exec, s[6:7]
	s_bitcmp1_b32 s8, 8
	s_cselect_b64 s[10:11], -1, 0
	s_and_b64 s[4:5], s[10:11], s[2:3]
	s_and_saveexec_b64 s[6:7], s[4:5]
	s_cbranch_execz .LBB8_7
; %bb.6:
	s_lshr_b64 s[4:5], s[16:17], 1
	s_lshr_b32 s5, s17, 1
	s_mul_i32 s5, s22, s5
	s_mul_hi_u32 s9, s22, s4
	s_add_i32 s5, s9, s5
	s_mul_i32 s9, s23, s4
	s_add_i32 s29, s5, s9
	s_mul_i32 s28, s22, s4
	v_mov_b32_e32 v6, s13
	v_add_co_u32_e64 v7, s[4:5], s12, v0
	v_addc_co_u32_e64 v8, s[4:5], v6, v1, s[4:5]
	s_lshl_b64 s[4:5], s[28:29], 4
	v_mov_b32_e32 v9, s5
	v_add_co_u32_e64 v6, s[4:5], s4, v7
	v_addc_co_u32_e64 v7, s[4:5], v8, v9, s[4:5]
	v_mov_b32_e32 v8, 0
	v_mov_b32_e32 v9, v8
	global_store_dwordx2 v[6:7], v[8:9], off offset:8
.LBB8_7:
	s_or_b64 exec, exec, s[6:7]
	;; [unrolled: 26-line block ×3, first 2 shown]
	s_and_b64 s[8:9], s[26:27], s[10:11]
	s_and_b64 s[4:5], s[8:9], s[2:3]
	s_and_saveexec_b64 s[28:29], s[4:5]
	s_cbranch_execz .LBB8_11
; %bb.10:
	s_lshr_b64 s[4:5], s[14:15], 1
	s_lshr_b32 s5, s15, 1
	s_mul_i32 s5, s20, s5
	s_mul_hi_u32 s30, s20, s4
	s_add_i32 s5, s30, s5
	s_mul_i32 s30, s21, s4
	s_add_i32 s31, s5, s30
	s_mul_i32 s30, s20, s4
	s_lshr_b64 s[4:5], s[16:17], 1
	s_lshr_b32 s5, s17, 1
	s_mul_i32 s5, s22, s5
	s_mul_hi_u32 s33, s22, s4
	s_add_i32 s5, s33, s5
	s_mul_i32 s33, s23, s4
	s_add_i32 s35, s5, s33
	s_mul_i32 s34, s22, s4
	v_mov_b32_e32 v6, s13
	v_add_co_u32_e64 v7, s[4:5], s12, v0
	v_addc_co_u32_e64 v6, s[4:5], v6, v1, s[4:5]
	s_lshl_b64 s[4:5], s[30:31], 4
	v_mov_b32_e32 v8, s5
	v_add_co_u32_e64 v7, s[4:5], s4, v7
	v_addc_co_u32_e64 v8, s[4:5], v6, v8, s[4:5]
	s_lshl_b64 s[4:5], s[34:35], 4
	v_mov_b32_e32 v9, s5
	v_add_co_u32_e64 v6, s[4:5], s4, v7
	v_addc_co_u32_e64 v7, s[4:5], v8, v9, s[4:5]
	v_mov_b32_e32 v8, 0
	v_mov_b32_e32 v9, v8
	global_store_dwordx2 v[6:7], v[8:9], off offset:8
.LBB8_11:
	s_or_b64 exec, exec, s[28:29]
	s_and_b64 s[4:5], s[26:27], s[6:7]
	s_and_b64 s[4:5], s[4:5], s[2:3]
	s_and_saveexec_b64 s[28:29], s[4:5]
	s_cbranch_execz .LBB8_13
; %bb.12:
	s_lshr_b64 s[4:5], s[14:15], 1
	s_lshr_b32 s5, s15, 1
	s_mul_i32 s5, s20, s5
	s_mul_hi_u32 s30, s20, s4
	s_add_i32 s5, s30, s5
	s_mul_i32 s30, s21, s4
	s_add_i32 s31, s5, s30
	s_mul_i32 s30, s20, s4
	s_lshr_b64 s[4:5], s[18:19], 1
	s_lshr_b32 s5, s19, 1
	s_mul_i32 s5, s24, s5
	s_mul_hi_u32 s33, s24, s4
	s_add_i32 s5, s33, s5
	s_mul_i32 s33, s25, s4
	s_add_i32 s35, s5, s33
	s_mul_i32 s34, s24, s4
	v_mov_b32_e32 v6, s13
	v_add_co_u32_e64 v7, s[4:5], s12, v0
	v_addc_co_u32_e64 v6, s[4:5], v6, v1, s[4:5]
	s_lshl_b64 s[4:5], s[30:31], 4
	v_mov_b32_e32 v8, s5
	v_add_co_u32_e64 v7, s[4:5], s4, v7
	v_addc_co_u32_e64 v8, s[4:5], v6, v8, s[4:5]
	s_lshl_b64 s[4:5], s[34:35], 4
	v_mov_b32_e32 v9, s5
	v_add_co_u32_e64 v6, s[4:5], s4, v7
	v_addc_co_u32_e64 v7, s[4:5], v8, v9, s[4:5]
	v_mov_b32_e32 v8, 0
	v_mov_b32_e32 v9, v8
	global_store_dwordx2 v[6:7], v[8:9], off offset:8
.LBB8_13:
	s_or_b64 exec, exec, s[28:29]
	;; [unrolled: 37-line block ×3, first 2 shown]
	s_and_b64 s[4:5], s[8:9], s[6:7]
	s_and_b64 s[2:3], s[4:5], s[2:3]
	s_and_saveexec_b64 s[4:5], s[2:3]
	s_cbranch_execz .LBB8_17
; %bb.16:
	s_lshr_b64 s[2:3], s[14:15], 1
	s_lshr_b32 s3, s15, 1
	s_mul_i32 s3, s20, s3
	s_mul_hi_u32 s8, s20, s2
	s_add_i32 s3, s8, s3
	s_mul_i32 s8, s21, s2
	s_add_i32 s9, s3, s8
	s_mul_i32 s8, s20, s2
	s_lshr_b64 s[2:3], s[16:17], 1
	s_lshr_b32 s3, s17, 1
	s_mul_i32 s3, s22, s3
	s_mul_hi_u32 s28, s22, s2
	s_add_i32 s3, s28, s3
	s_mul_i32 s28, s23, s2
	s_add_i32 s29, s3, s28
	s_mul_i32 s28, s22, s2
	;; [unrolled: 8-line block ×3, first 2 shown]
	v_mov_b32_e32 v6, s13
	v_add_co_u32_e64 v7, s[2:3], s12, v0
	v_addc_co_u32_e64 v6, s[2:3], v6, v1, s[2:3]
	s_lshl_b64 s[2:3], s[8:9], 4
	v_mov_b32_e32 v8, s3
	v_add_co_u32_e64 v7, s[2:3], s2, v7
	v_addc_co_u32_e64 v6, s[2:3], v6, v8, s[2:3]
	s_lshl_b64 s[2:3], s[28:29], 4
	;; [unrolled: 4-line block ×3, first 2 shown]
	v_mov_b32_e32 v9, s3
	v_add_co_u32_e64 v6, s[2:3], s2, v7
	v_addc_co_u32_e64 v7, s[2:3], v8, v9, s[2:3]
	v_mov_b32_e32 v8, 0
	v_mov_b32_e32 v9, v8
	global_store_dwordx2 v[6:7], v[8:9], off offset:8
.LBB8_17:
	s_or_b64 exec, exec, s[4:5]
	v_cmp_gt_u64_e64 s[2:3], s[42:43], v[2:3]
	s_and_b64 s[8:9], s[0:1], s[2:3]
	s_and_saveexec_b64 s[28:29], s[8:9]
	s_cbranch_execz .LBB8_19
; %bb.18:
	v_add_co_u32_e64 v10, s[4:5], 1, v2
	v_addc_co_u32_e64 v11, s[4:5], 0, v3, s[4:5]
	v_mul_lo_u32 v8, v11, s22
	v_mul_lo_u32 v9, v10, s23
	v_mad_u64_u32 v[6:7], s[4:5], v10, s22, 0
	v_add_co_u32_e64 v12, s[4:5], s12, v0
	v_add3_u32 v7, v7, v9, v8
	v_mov_b32_e32 v8, s13
	v_lshlrev_b64 v[6:7], 4, v[6:7]
	v_addc_co_u32_e64 v13, s[4:5], v8, v1, s[4:5]
	v_add_co_u32_e64 v6, s[4:5], v12, v6
	v_addc_co_u32_e64 v7, s[4:5], v13, v7, s[4:5]
	global_load_dwordx4 v[6:9], v[6:7], off
	v_mov_b32_e32 v14, s17
	v_sub_co_u32_e64 v10, s[4:5], s16, v10
	v_subb_co_u32_e64 v11, s[4:5], v14, v11, s[4:5]
	v_mul_lo_u32 v14, v11, s22
	v_mul_lo_u32 v15, v10, s23
	v_mad_u64_u32 v[10:11], s[4:5], v10, s22, 0
	v_add3_u32 v11, v11, v15, v14
	v_lshlrev_b64 v[10:11], 4, v[10:11]
	v_add_co_u32_e64 v10, s[4:5], v12, v10
	v_addc_co_u32_e64 v11, s[4:5], v13, v11, s[4:5]
	s_waitcnt vmcnt(0)
	v_xor_b32_e32 v9, 0x80000000, v9
	global_store_dwordx4 v[10:11], v[6:9], off
.LBB8_19:
	s_or_b64 exec, exec, s[28:29]
	s_and_b64 s[0:1], s[26:27], s[0:1]
	s_and_b64 s[2:3], s[0:1], s[2:3]
	s_and_saveexec_b64 s[4:5], s[2:3]
	s_cbranch_execz .LBB8_21
; %bb.20:
	s_lshr_b64 s[26:27], s[14:15], 1
	s_lshr_b32 s0, s15, 1
	s_mul_i32 s0, s20, s0
	s_mul_hi_u32 s1, s20, s26
	s_add_i32 s27, s1, s0
	v_add_co_u32_e64 v10, s[0:1], 1, v2
	v_addc_co_u32_e64 v11, s[0:1], 0, v3, s[0:1]
	v_mul_lo_u32 v8, v11, s22
	v_mul_lo_u32 v9, v10, s23
	v_mad_u64_u32 v[6:7], s[0:1], v10, s22, 0
	s_mul_i32 s0, s21, s26
	s_add_i32 s27, s27, s0
	v_add3_u32 v7, v7, v9, v8
	v_mov_b32_e32 v8, s13
	v_add_co_u32_e64 v9, s[0:1], s12, v0
	s_mul_i32 s26, s20, s26
	v_addc_co_u32_e64 v8, s[0:1], v8, v1, s[0:1]
	s_lshl_b64 s[0:1], s[26:27], 4
	v_mov_b32_e32 v12, s1
	v_add_co_u32_e64 v13, s[0:1], s0, v9
	v_lshlrev_b64 v[6:7], 4, v[6:7]
	v_addc_co_u32_e64 v12, s[0:1], v8, v12, s[0:1]
	v_add_co_u32_e64 v6, s[0:1], v13, v6
	v_addc_co_u32_e64 v7, s[0:1], v12, v7, s[0:1]
	global_load_dwordx4 v[6:9], v[6:7], off
	v_mov_b32_e32 v14, s17
	v_sub_co_u32_e64 v10, s[0:1], s16, v10
	v_subb_co_u32_e64 v11, s[0:1], v14, v11, s[0:1]
	v_mul_lo_u32 v14, v11, s22
	v_mul_lo_u32 v15, v10, s23
	v_mad_u64_u32 v[10:11], s[0:1], v10, s22, 0
	v_add3_u32 v11, v11, v15, v14
	v_lshlrev_b64 v[10:11], 4, v[10:11]
	v_add_co_u32_e64 v10, s[0:1], v13, v10
	v_addc_co_u32_e64 v11, s[0:1], v12, v11, s[0:1]
	s_waitcnt vmcnt(0)
	v_xor_b32_e32 v9, 0x80000000, v9
	global_store_dwordx4 v[10:11], v[6:9], off
.LBB8_21:
	s_or_b64 exec, exec, s[4:5]
	v_cmp_gt_u64_e64 s[0:1], s[38:39], v[4:5]
	s_and_b64 s[26:27], s[0:1], vcc
	s_and_saveexec_b64 s[4:5], s[26:27]
	s_cbranch_execz .LBB8_23
; %bb.22:
	v_add_co_u32_e32 v10, vcc, 1, v4
	v_addc_co_u32_e32 v11, vcc, 0, v5, vcc
	v_mul_lo_u32 v8, v11, s20
	v_mul_lo_u32 v9, v10, s21
	v_mad_u64_u32 v[6:7], s[28:29], v10, s20, 0
	v_add_co_u32_e32 v12, vcc, s12, v0
	v_add3_u32 v7, v7, v9, v8
	v_mov_b32_e32 v8, s13
	v_lshlrev_b64 v[6:7], 4, v[6:7]
	v_addc_co_u32_e32 v13, vcc, v8, v1, vcc
	v_add_co_u32_e32 v6, vcc, v12, v6
	v_addc_co_u32_e32 v7, vcc, v13, v7, vcc
	global_load_dwordx4 v[6:9], v[6:7], off
	v_mov_b32_e32 v14, s15
	v_sub_co_u32_e32 v10, vcc, s14, v10
	v_subb_co_u32_e32 v11, vcc, v14, v11, vcc
	v_mul_lo_u32 v14, v11, s20
	v_mul_lo_u32 v15, v10, s21
	v_mad_u64_u32 v[10:11], s[28:29], v10, s20, 0
	v_add3_u32 v11, v11, v15, v14
	v_lshlrev_b64 v[10:11], 4, v[10:11]
	v_add_co_u32_e32 v10, vcc, v12, v10
	v_addc_co_u32_e32 v11, vcc, v13, v11, vcc
	s_waitcnt vmcnt(0)
	v_xor_b32_e32 v9, 0x80000000, v9
	global_store_dwordx4 v[10:11], v[6:9], off
.LBB8_23:
	s_or_b64 exec, exec, s[4:5]
	s_and_b64 s[4:5], s[10:11], s[26:27]
	s_and_saveexec_b64 s[10:11], s[4:5]
	s_cbranch_execz .LBB8_25
; %bb.24:
	s_lshr_b64 s[28:29], s[16:17], 1
	v_add_co_u32_e32 v10, vcc, 1, v4
	s_lshr_b32 s29, s17, 1
	v_addc_co_u32_e32 v11, vcc, 0, v5, vcc
	s_mul_i32 s29, s22, s29
	s_mul_hi_u32 s30, s22, s28
	s_add_i32 s29, s30, s29
	v_mul_lo_u32 v8, v11, s20
	v_mul_lo_u32 v9, v10, s21
	v_mad_u64_u32 v[6:7], s[30:31], v10, s20, 0
	v_add_co_u32_e32 v12, vcc, s12, v0
	v_add3_u32 v7, v7, v9, v8
	v_mov_b32_e32 v8, s13
	v_lshlrev_b64 v[6:7], 4, v[6:7]
	s_mul_i32 s30, s23, s28
	v_addc_co_u32_e32 v13, vcc, v8, v1, vcc
	s_add_i32 s29, s29, s30
	s_mul_i32 s28, s22, s28
	v_add_co_u32_e32 v6, vcc, v12, v6
	v_addc_co_u32_e32 v7, vcc, v13, v7, vcc
	s_lshl_b64 s[28:29], s[28:29], 4
	v_mov_b32_e32 v14, s29
	v_add_co_u32_e32 v6, vcc, s28, v6
	v_addc_co_u32_e32 v7, vcc, v7, v14, vcc
	global_load_dwordx4 v[6:9], v[6:7], off
	v_mov_b32_e32 v15, s15
	v_sub_co_u32_e32 v10, vcc, s14, v10
	v_subb_co_u32_e32 v11, vcc, v15, v11, vcc
	v_mul_lo_u32 v15, v11, s20
	v_mul_lo_u32 v16, v10, s21
	v_mad_u64_u32 v[10:11], s[30:31], v10, s20, 0
	v_add3_u32 v11, v11, v16, v15
	v_lshlrev_b64 v[10:11], 4, v[10:11]
	v_add_co_u32_e32 v10, vcc, v12, v10
	v_addc_co_u32_e32 v11, vcc, v13, v11, vcc
	v_add_co_u32_e32 v10, vcc, s28, v10
	v_addc_co_u32_e32 v11, vcc, v11, v14, vcc
	s_waitcnt vmcnt(0)
	v_xor_b32_e32 v9, 0x80000000, v9
	global_store_dwordx4 v[10:11], v[6:9], off
.LBB8_25:
	s_or_b64 exec, exec, s[10:11]
	v_cmp_gt_u64_e32 vcc, s[40:41], v[2:3]
	s_and_b64 s[0:1], s[0:1], vcc
	s_and_saveexec_b64 s[10:11], s[0:1]
	s_cbranch_execz .LBB8_27
; %bb.26:
	v_add_co_u32_e32 v10, vcc, 1, v4
	v_addc_co_u32_e32 v11, vcc, 0, v5, vcc
	v_mul_lo_u32 v14, v11, s20
	v_mul_lo_u32 v15, v10, s21
	v_mad_u64_u32 v[6:7], s[28:29], v10, s20, 0
	v_add_co_u32_e32 v12, vcc, 1, v2
	v_addc_co_u32_e32 v13, vcc, 0, v3, vcc
	v_mul_lo_u32 v16, v13, s22
	v_mul_lo_u32 v17, v12, s23
	v_mad_u64_u32 v[8:9], s[28:29], v12, s22, 0
	v_add3_u32 v7, v7, v15, v14
	v_mov_b32_e32 v14, s13
	v_add_co_u32_e32 v15, vcc, s12, v0
	v_lshlrev_b64 v[6:7], 4, v[6:7]
	v_addc_co_u32_e32 v14, vcc, v14, v1, vcc
	v_add3_u32 v9, v9, v17, v16
	v_add_co_u32_e32 v16, vcc, v15, v6
	v_addc_co_u32_e32 v17, vcc, v14, v7, vcc
	v_lshlrev_b64 v[6:7], 4, v[8:9]
	v_mov_b32_e32 v18, s17
	v_add_co_u32_e32 v6, vcc, v16, v6
	v_addc_co_u32_e32 v7, vcc, v17, v7, vcc
	global_load_dwordx4 v[6:9], v[6:7], off
	v_mov_b32_e32 v16, s15
	v_sub_co_u32_e32 v10, vcc, s14, v10
	v_subb_co_u32_e32 v11, vcc, v16, v11, vcc
	v_mul_lo_u32 v16, v11, s20
	v_mul_lo_u32 v17, v10, s21
	v_mad_u64_u32 v[10:11], s[28:29], v10, s20, 0
	v_sub_co_u32_e32 v12, vcc, s16, v12
	v_subb_co_u32_e32 v13, vcc, v18, v13, vcc
	v_mul_lo_u32 v18, v13, s22
	v_mul_lo_u32 v19, v12, s23
	v_mad_u64_u32 v[12:13], s[28:29], v12, s22, 0
	v_add3_u32 v11, v11, v17, v16
	v_lshlrev_b64 v[10:11], 4, v[10:11]
	v_add3_u32 v13, v13, v19, v18
	v_add_co_u32_e32 v15, vcc, v15, v10
	v_addc_co_u32_e32 v14, vcc, v14, v11, vcc
	v_lshlrev_b64 v[10:11], 4, v[12:13]
	v_add_co_u32_e32 v10, vcc, v15, v10
	v_addc_co_u32_e32 v11, vcc, v14, v11, vcc
	s_waitcnt vmcnt(0)
	v_xor_b32_e32 v9, 0x80000000, v9
	global_store_dwordx4 v[10:11], v[6:9], off
.LBB8_27:
	s_or_b64 exec, exec, s[10:11]
	s_andn2_b64 vcc, exec, s[6:7]
	s_cbranch_vccnz .LBB8_34
; %bb.28:
	s_and_saveexec_b64 s[6:7], s[26:27]
	s_cbranch_execnz .LBB8_35
; %bb.29:
	s_or_b64 exec, exec, s[6:7]
	s_and_saveexec_b64 s[6:7], s[4:5]
	s_cbranch_execnz .LBB8_36
.LBB8_30:
	s_or_b64 exec, exec, s[6:7]
	s_and_saveexec_b64 s[4:5], s[8:9]
	s_cbranch_execnz .LBB8_37
.LBB8_31:
	s_or_b64 exec, exec, s[4:5]
	s_and_saveexec_b64 s[4:5], s[2:3]
	s_cbranch_execnz .LBB8_38
.LBB8_32:
	s_or_b64 exec, exec, s[4:5]
	s_and_b64 exec, exec, s[0:1]
	s_cbranch_execz .LBB8_34
.LBB8_33:
	v_add_co_u32_e32 v6, vcc, 1, v4
	s_lshr_b64 s[0:1], s[18:19], 1
	v_addc_co_u32_e32 v7, vcc, 0, v5, vcc
	s_lshr_b32 s1, s19, 1
	v_add_co_u32_e32 v8, vcc, 1, v2
	s_mul_i32 s1, s24, s1
	s_mul_hi_u32 s2, s24, s0
	v_addc_co_u32_e32 v9, vcc, 0, v3, vcc
	s_add_i32 s1, s2, s1
	v_mul_lo_u32 v10, v7, s20
	v_mul_lo_u32 v11, v6, s21
	v_mad_u64_u32 v[2:3], s[2:3], v6, s20, 0
	v_mul_lo_u32 v12, v9, s22
	v_mul_lo_u32 v13, v8, s23
	v_mad_u64_u32 v[4:5], s[2:3], v8, s22, 0
	v_add3_u32 v3, v3, v11, v10
	v_mov_b32_e32 v10, s13
	v_add_co_u32_e32 v11, vcc, s12, v0
	v_addc_co_u32_e32 v10, vcc, v10, v1, vcc
	v_lshlrev_b64 v[0:1], 4, v[2:3]
	v_add3_u32 v5, v5, v13, v12
	v_add_co_u32_e32 v2, vcc, v11, v0
	v_addc_co_u32_e32 v3, vcc, v10, v1, vcc
	v_lshlrev_b64 v[0:1], 4, v[4:5]
	s_mul_i32 s4, s25, s0
	s_add_i32 s1, s1, s4
	s_mul_i32 s0, s24, s0
	v_add_co_u32_e32 v0, vcc, v2, v0
	v_addc_co_u32_e32 v1, vcc, v3, v1, vcc
	s_lshl_b64 s[0:1], s[0:1], 4
	v_mov_b32_e32 v12, s1
	v_add_co_u32_e32 v0, vcc, s0, v0
	v_addc_co_u32_e32 v1, vcc, v1, v12, vcc
	global_load_dwordx4 v[0:3], v[0:1], off
	v_mov_b32_e32 v4, s15
	v_sub_co_u32_e32 v5, vcc, s14, v6
	v_subb_co_u32_e32 v4, vcc, v4, v7, vcc
	v_mul_lo_u32 v13, v4, s20
	v_mul_lo_u32 v14, v5, s21
	v_mad_u64_u32 v[4:5], s[2:3], v5, s20, 0
	v_mov_b32_e32 v6, s17
	v_sub_co_u32_e32 v7, vcc, s16, v8
	v_subb_co_u32_e32 v6, vcc, v6, v9, vcc
	v_mul_lo_u32 v8, v6, s22
	v_mul_lo_u32 v9, v7, s23
	v_mad_u64_u32 v[6:7], s[2:3], v7, s22, 0
	v_add3_u32 v5, v5, v14, v13
	v_lshlrev_b64 v[4:5], 4, v[4:5]
	v_add3_u32 v7, v7, v9, v8
	v_add_co_u32_e32 v8, vcc, v11, v4
	v_addc_co_u32_e32 v9, vcc, v10, v5, vcc
	v_lshlrev_b64 v[4:5], 4, v[6:7]
	v_add_co_u32_e32 v4, vcc, v8, v4
	v_addc_co_u32_e32 v5, vcc, v9, v5, vcc
	v_add_co_u32_e32 v4, vcc, s0, v4
	v_addc_co_u32_e32 v5, vcc, v5, v12, vcc
	s_waitcnt vmcnt(0)
	v_xor_b32_e32 v3, 0x80000000, v3
	global_store_dwordx4 v[4:5], v[0:3], off
.LBB8_34:
	s_endpgm
.LBB8_35:
	s_lshr_b64 s[10:11], s[18:19], 1
	v_add_co_u32_e32 v10, vcc, 1, v4
	s_lshr_b32 s11, s19, 1
	v_addc_co_u32_e32 v11, vcc, 0, v5, vcc
	s_mul_i32 s11, s24, s11
	s_mul_hi_u32 s26, s24, s10
	s_add_i32 s11, s26, s11
	v_mul_lo_u32 v8, v11, s20
	v_mul_lo_u32 v9, v10, s21
	v_mad_u64_u32 v[6:7], s[26:27], v10, s20, 0
	v_add_co_u32_e32 v12, vcc, s12, v0
	v_add3_u32 v7, v7, v9, v8
	v_mov_b32_e32 v8, s13
	v_lshlrev_b64 v[6:7], 4, v[6:7]
	s_mul_i32 s26, s25, s10
	v_addc_co_u32_e32 v13, vcc, v8, v1, vcc
	s_add_i32 s11, s11, s26
	s_mul_i32 s10, s24, s10
	v_add_co_u32_e32 v6, vcc, v12, v6
	v_addc_co_u32_e32 v7, vcc, v13, v7, vcc
	s_lshl_b64 s[10:11], s[10:11], 4
	v_mov_b32_e32 v14, s11
	v_add_co_u32_e32 v6, vcc, s10, v6
	v_addc_co_u32_e32 v7, vcc, v7, v14, vcc
	global_load_dwordx4 v[6:9], v[6:7], off
	v_mov_b32_e32 v15, s15
	v_sub_co_u32_e32 v10, vcc, s14, v10
	v_subb_co_u32_e32 v11, vcc, v15, v11, vcc
	v_mul_lo_u32 v15, v11, s20
	v_mul_lo_u32 v16, v10, s21
	v_mad_u64_u32 v[10:11], s[26:27], v10, s20, 0
	v_add3_u32 v11, v11, v16, v15
	v_lshlrev_b64 v[10:11], 4, v[10:11]
	v_add_co_u32_e32 v10, vcc, v12, v10
	v_addc_co_u32_e32 v11, vcc, v13, v11, vcc
	v_add_co_u32_e32 v10, vcc, s10, v10
	v_addc_co_u32_e32 v11, vcc, v11, v14, vcc
	s_waitcnt vmcnt(0)
	v_xor_b32_e32 v9, 0x80000000, v9
	global_store_dwordx4 v[10:11], v[6:9], off
	s_or_b64 exec, exec, s[6:7]
	s_and_saveexec_b64 s[6:7], s[4:5]
	s_cbranch_execz .LBB8_30
.LBB8_36:
	s_lshr_b64 s[4:5], s[18:19], 1
	v_add_co_u32_e32 v10, vcc, 1, v4
	s_lshr_b32 s5, s19, 1
	v_addc_co_u32_e32 v11, vcc, 0, v5, vcc
	s_mul_i32 s5, s24, s5
	s_mul_hi_u32 s10, s24, s4
	s_add_i32 s5, s10, s5
	v_mul_lo_u32 v8, v11, s20
	v_mul_lo_u32 v9, v10, s21
	v_mad_u64_u32 v[6:7], s[10:11], v10, s20, 0
	v_add_co_u32_e32 v12, vcc, s12, v0
	v_add3_u32 v7, v7, v9, v8
	v_mov_b32_e32 v8, s13
	v_lshlrev_b64 v[6:7], 4, v[6:7]
	s_mul_i32 s10, s25, s4
	v_addc_co_u32_e32 v13, vcc, v8, v1, vcc
	s_add_i32 s5, s5, s10
	s_mul_i32 s4, s24, s4
	v_add_co_u32_e32 v6, vcc, v12, v6
	v_addc_co_u32_e32 v7, vcc, v13, v7, vcc
	s_lshl_b64 s[4:5], s[4:5], 4
	v_mov_b32_e32 v14, s5
	v_add_co_u32_e32 v6, vcc, s4, v6
	v_addc_co_u32_e32 v7, vcc, v7, v14, vcc
	global_load_dwordx4 v[6:9], v[6:7], off
	v_mov_b32_e32 v15, s15
	v_sub_co_u32_e32 v10, vcc, s14, v10
	v_subb_co_u32_e32 v11, vcc, v15, v11, vcc
	v_mul_lo_u32 v15, v11, s20
	v_mul_lo_u32 v16, v10, s21
	v_mad_u64_u32 v[10:11], s[10:11], v10, s20, 0
	v_add3_u32 v11, v11, v16, v15
	v_lshlrev_b64 v[10:11], 4, v[10:11]
	v_add_co_u32_e32 v10, vcc, v12, v10
	v_addc_co_u32_e32 v11, vcc, v13, v11, vcc
	v_add_co_u32_e32 v10, vcc, s4, v10
	v_addc_co_u32_e32 v11, vcc, v11, v14, vcc
	s_waitcnt vmcnt(0)
	v_xor_b32_e32 v9, 0x80000000, v9
	global_store_dwordx4 v[10:11], v[6:9], off
	s_or_b64 exec, exec, s[6:7]
	s_and_saveexec_b64 s[4:5], s[8:9]
	s_cbranch_execz .LBB8_31
.LBB8_37:
	s_lshr_b64 s[6:7], s[18:19], 1
	v_add_co_u32_e32 v10, vcc, 1, v2
	s_lshr_b32 s7, s19, 1
	v_addc_co_u32_e32 v11, vcc, 0, v3, vcc
	s_mul_i32 s7, s24, s7
	s_mul_hi_u32 s8, s24, s6
	s_add_i32 s7, s8, s7
	v_mul_lo_u32 v8, v11, s22
	v_mul_lo_u32 v9, v10, s23
	v_mad_u64_u32 v[6:7], s[8:9], v10, s22, 0
	v_add_co_u32_e32 v12, vcc, s12, v0
	v_add3_u32 v7, v7, v9, v8
	v_mov_b32_e32 v8, s13
	v_lshlrev_b64 v[6:7], 4, v[6:7]
	s_mul_i32 s8, s25, s6
	v_addc_co_u32_e32 v13, vcc, v8, v1, vcc
	s_add_i32 s7, s7, s8
	s_mul_i32 s6, s24, s6
	v_add_co_u32_e32 v6, vcc, v12, v6
	v_addc_co_u32_e32 v7, vcc, v13, v7, vcc
	s_lshl_b64 s[6:7], s[6:7], 4
	v_mov_b32_e32 v14, s7
	v_add_co_u32_e32 v6, vcc, s6, v6
	v_addc_co_u32_e32 v7, vcc, v7, v14, vcc
	global_load_dwordx4 v[6:9], v[6:7], off
	v_mov_b32_e32 v15, s17
	v_sub_co_u32_e32 v10, vcc, s16, v10
	v_subb_co_u32_e32 v11, vcc, v15, v11, vcc
	v_mul_lo_u32 v15, v11, s22
	v_mul_lo_u32 v16, v10, s23
	v_mad_u64_u32 v[10:11], s[8:9], v10, s22, 0
	v_add3_u32 v11, v11, v16, v15
	v_lshlrev_b64 v[10:11], 4, v[10:11]
	v_add_co_u32_e32 v10, vcc, v12, v10
	v_addc_co_u32_e32 v11, vcc, v13, v11, vcc
	v_add_co_u32_e32 v10, vcc, s6, v10
	v_addc_co_u32_e32 v11, vcc, v11, v14, vcc
	s_waitcnt vmcnt(0)
	v_xor_b32_e32 v9, 0x80000000, v9
	global_store_dwordx4 v[10:11], v[6:9], off
	s_or_b64 exec, exec, s[4:5]
	s_and_saveexec_b64 s[4:5], s[2:3]
	s_cbranch_execz .LBB8_32
.LBB8_38:
	s_lshr_b64 s[2:3], s[14:15], 1
	s_lshr_b32 s3, s15, 1
	s_mul_i32 s3, s20, s3
	s_mul_hi_u32 s6, s20, s2
	s_add_i32 s3, s6, s3
	s_mul_i32 s6, s21, s2
	s_add_i32 s3, s3, s6
	s_lshr_b64 s[6:7], s[18:19], 1
	v_add_co_u32_e32 v10, vcc, 1, v2
	s_lshr_b32 s7, s19, 1
	v_addc_co_u32_e32 v11, vcc, 0, v3, vcc
	s_mul_i32 s7, s24, s7
	s_mul_hi_u32 s8, s24, s6
	s_add_i32 s7, s8, s7
	v_mul_lo_u32 v8, v11, s22
	v_mul_lo_u32 v9, v10, s23
	v_mad_u64_u32 v[6:7], s[8:9], v10, s22, 0
	s_mul_i32 s2, s20, s2
	s_lshl_b64 s[2:3], s[2:3], 4
	v_add3_u32 v7, v7, v9, v8
	v_mov_b32_e32 v8, s13
	v_add_co_u32_e32 v9, vcc, s12, v0
	v_addc_co_u32_e32 v8, vcc, v8, v1, vcc
	v_mov_b32_e32 v12, s3
	v_add_co_u32_e32 v13, vcc, s2, v9
	v_lshlrev_b64 v[6:7], 4, v[6:7]
	s_mul_i32 s8, s25, s6
	v_addc_co_u32_e32 v12, vcc, v8, v12, vcc
	s_add_i32 s7, s7, s8
	s_mul_i32 s6, s24, s6
	v_add_co_u32_e32 v6, vcc, v13, v6
	v_addc_co_u32_e32 v7, vcc, v12, v7, vcc
	s_lshl_b64 s[2:3], s[6:7], 4
	v_mov_b32_e32 v14, s3
	v_add_co_u32_e32 v6, vcc, s2, v6
	v_addc_co_u32_e32 v7, vcc, v7, v14, vcc
	global_load_dwordx4 v[6:9], v[6:7], off
	v_mov_b32_e32 v15, s17
	v_sub_co_u32_e32 v10, vcc, s16, v10
	v_subb_co_u32_e32 v11, vcc, v15, v11, vcc
	v_mul_lo_u32 v15, v11, s22
	v_mul_lo_u32 v16, v10, s23
	v_mad_u64_u32 v[10:11], s[6:7], v10, s22, 0
	v_add3_u32 v11, v11, v16, v15
	v_lshlrev_b64 v[10:11], 4, v[10:11]
	v_add_co_u32_e32 v10, vcc, v13, v10
	v_addc_co_u32_e32 v11, vcc, v12, v11, vcc
	v_add_co_u32_e32 v10, vcc, s2, v10
	v_addc_co_u32_e32 v11, vcc, v11, v14, vcc
	s_waitcnt vmcnt(0)
	v_xor_b32_e32 v9, 0x80000000, v9
	global_store_dwordx4 v[10:11], v[6:9], off
	s_or_b64 exec, exec, s[4:5]
	s_and_b64 exec, exec, s[0:1]
	s_cbranch_execnz .LBB8_33
	s_branch .LBB8_34
	.section	.rodata,"a",@progbits
	.p2align	6, 0x0
	.amdhsa_kernel _ZL47impose_hermitian_symmetry_interleaved_3D_kernelI15HIP_vector_typeIdLj2EEEvPT_mmmmmmmmmmmbbb
		.amdhsa_group_segment_fixed_size 0
		.amdhsa_private_segment_fixed_size 0
		.amdhsa_kernarg_size 360
		.amdhsa_user_sgpr_count 6
		.amdhsa_user_sgpr_private_segment_buffer 1
		.amdhsa_user_sgpr_dispatch_ptr 0
		.amdhsa_user_sgpr_queue_ptr 0
		.amdhsa_user_sgpr_kernarg_segment_ptr 1
		.amdhsa_user_sgpr_dispatch_id 0
		.amdhsa_user_sgpr_flat_scratch_init 0
		.amdhsa_user_sgpr_private_segment_size 0
		.amdhsa_uses_dynamic_stack 0
		.amdhsa_system_sgpr_private_segment_wavefront_offset 0
		.amdhsa_system_sgpr_workgroup_id_x 1
		.amdhsa_system_sgpr_workgroup_id_y 1
		.amdhsa_system_sgpr_workgroup_id_z 1
		.amdhsa_system_sgpr_workgroup_info 0
		.amdhsa_system_vgpr_workitem_id 2
		.amdhsa_next_free_vgpr 20
		.amdhsa_next_free_sgpr 44
		.amdhsa_reserve_vcc 1
		.amdhsa_reserve_flat_scratch 0
		.amdhsa_float_round_mode_32 0
		.amdhsa_float_round_mode_16_64 0
		.amdhsa_float_denorm_mode_32 3
		.amdhsa_float_denorm_mode_16_64 3
		.amdhsa_dx10_clamp 1
		.amdhsa_ieee_mode 1
		.amdhsa_fp16_overflow 0
		.amdhsa_exception_fp_ieee_invalid_op 0
		.amdhsa_exception_fp_denorm_src 0
		.amdhsa_exception_fp_ieee_div_zero 0
		.amdhsa_exception_fp_ieee_overflow 0
		.amdhsa_exception_fp_ieee_underflow 0
		.amdhsa_exception_fp_ieee_inexact 0
		.amdhsa_exception_int_div_zero 0
	.end_amdhsa_kernel
	.section	.text._ZL47impose_hermitian_symmetry_interleaved_3D_kernelI15HIP_vector_typeIdLj2EEEvPT_mmmmmmmmmmmbbb,"axG",@progbits,_ZL47impose_hermitian_symmetry_interleaved_3D_kernelI15HIP_vector_typeIdLj2EEEvPT_mmmmmmmmmmmbbb,comdat
.Lfunc_end8:
	.size	_ZL47impose_hermitian_symmetry_interleaved_3D_kernelI15HIP_vector_typeIdLj2EEEvPT_mmmmmmmmmmmbbb, .Lfunc_end8-_ZL47impose_hermitian_symmetry_interleaved_3D_kernelI15HIP_vector_typeIdLj2EEEvPT_mmmmmmmmmmmbbb
                                        ; -- End function
	.set _ZL47impose_hermitian_symmetry_interleaved_3D_kernelI15HIP_vector_typeIdLj2EEEvPT_mmmmmmmmmmmbbb.num_vgpr, 20
	.set _ZL47impose_hermitian_symmetry_interleaved_3D_kernelI15HIP_vector_typeIdLj2EEEvPT_mmmmmmmmmmmbbb.num_agpr, 0
	.set _ZL47impose_hermitian_symmetry_interleaved_3D_kernelI15HIP_vector_typeIdLj2EEEvPT_mmmmmmmmmmmbbb.numbered_sgpr, 44
	.set _ZL47impose_hermitian_symmetry_interleaved_3D_kernelI15HIP_vector_typeIdLj2EEEvPT_mmmmmmmmmmmbbb.num_named_barrier, 0
	.set _ZL47impose_hermitian_symmetry_interleaved_3D_kernelI15HIP_vector_typeIdLj2EEEvPT_mmmmmmmmmmmbbb.private_seg_size, 0
	.set _ZL47impose_hermitian_symmetry_interleaved_3D_kernelI15HIP_vector_typeIdLj2EEEvPT_mmmmmmmmmmmbbb.uses_vcc, 1
	.set _ZL47impose_hermitian_symmetry_interleaved_3D_kernelI15HIP_vector_typeIdLj2EEEvPT_mmmmmmmmmmmbbb.uses_flat_scratch, 0
	.set _ZL47impose_hermitian_symmetry_interleaved_3D_kernelI15HIP_vector_typeIdLj2EEEvPT_mmmmmmmmmmmbbb.has_dyn_sized_stack, 0
	.set _ZL47impose_hermitian_symmetry_interleaved_3D_kernelI15HIP_vector_typeIdLj2EEEvPT_mmmmmmmmmmmbbb.has_recursion, 0
	.set _ZL47impose_hermitian_symmetry_interleaved_3D_kernelI15HIP_vector_typeIdLj2EEEvPT_mmmmmmmmmmmbbb.has_indirect_call, 0
	.section	.AMDGPU.csdata,"",@progbits
; Kernel info:
; codeLenInByte = 3868
; TotalNumSgprs: 48
; NumVgprs: 20
; ScratchSize: 0
; MemoryBound: 0
; FloatMode: 240
; IeeeMode: 1
; LDSByteSize: 0 bytes/workgroup (compile time only)
; SGPRBlocks: 5
; VGPRBlocks: 4
; NumSGPRsForWavesPerEU: 48
; NumVGPRsForWavesPerEU: 20
; Occupancy: 10
; WaveLimiterHint : 0
; COMPUTE_PGM_RSRC2:SCRATCH_EN: 0
; COMPUTE_PGM_RSRC2:USER_SGPR: 6
; COMPUTE_PGM_RSRC2:TRAP_HANDLER: 0
; COMPUTE_PGM_RSRC2:TGID_X_EN: 1
; COMPUTE_PGM_RSRC2:TGID_Y_EN: 1
; COMPUTE_PGM_RSRC2:TGID_Z_EN: 1
; COMPUTE_PGM_RSRC2:TIDIG_COMP_CNT: 2
	.section	.AMDGPU.gpr_maximums,"",@progbits
	.set amdgpu.max_num_vgpr, 0
	.set amdgpu.max_num_agpr, 0
	.set amdgpu.max_num_sgpr, 0
	.section	.AMDGPU.csdata,"",@progbits
	.type	__hip_cuid_c7d19bfbe17f8881,@object ; @__hip_cuid_c7d19bfbe17f8881
	.section	.bss,"aw",@nobits
	.globl	__hip_cuid_c7d19bfbe17f8881
__hip_cuid_c7d19bfbe17f8881:
	.byte	0                               ; 0x0
	.size	__hip_cuid_c7d19bfbe17f8881, 1

	.ident	"AMD clang version 22.0.0git (https://github.com/RadeonOpenCompute/llvm-project roc-7.2.4 26084 f58b06dce1f9c15707c5f808fd002e18c2accf7e)"
	.section	".note.GNU-stack","",@progbits
	.addrsig
	.addrsig_sym __hip_cuid_c7d19bfbe17f8881
	.amdgpu_metadata
---
amdhsa.kernels:
  - .args:
      - .address_space:  global
        .offset:         0
        .size:           8
        .value_kind:     global_buffer
      - .offset:         8
        .size:           8
        .value_kind:     by_value
      - .offset:         16
        .size:           8
        .value_kind:     by_value
      - .offset:         24
        .size:           4
        .value_kind:     hidden_block_count_x
      - .offset:         28
        .size:           4
        .value_kind:     hidden_block_count_y
      - .offset:         32
        .size:           4
        .value_kind:     hidden_block_count_z
      - .offset:         36
        .size:           2
        .value_kind:     hidden_group_size_x
      - .offset:         38
        .size:           2
        .value_kind:     hidden_group_size_y
      - .offset:         40
        .size:           2
        .value_kind:     hidden_group_size_z
      - .offset:         42
        .size:           2
        .value_kind:     hidden_remainder_x
      - .offset:         44
        .size:           2
        .value_kind:     hidden_remainder_y
      - .offset:         46
        .size:           2
        .value_kind:     hidden_remainder_z
      - .offset:         64
        .size:           8
        .value_kind:     hidden_global_offset_x
      - .offset:         72
        .size:           8
        .value_kind:     hidden_global_offset_y
      - .offset:         80
        .size:           8
        .value_kind:     hidden_global_offset_z
      - .offset:         88
        .size:           2
        .value_kind:     hidden_grid_dims
    .group_segment_fixed_size: 0
    .kernarg_segment_align: 8
    .kernarg_segment_size: 280
    .language:       OpenCL C
    .language_version:
      - 2
      - 0
    .max_flat_workgroup_size: 1024
    .name:           _Z10initrdata1Pdmm
    .private_segment_fixed_size: 0
    .sgpr_count:     12
    .sgpr_spill_count: 0
    .symbol:         _Z10initrdata1Pdmm.kd
    .uniform_work_group_size: 1
    .uses_dynamic_stack: false
    .vgpr_count:     9
    .vgpr_spill_count: 0
    .wavefront_size: 64
  - .args:
      - .address_space:  global
        .offset:         0
        .size:           8
        .value_kind:     global_buffer
      - .offset:         8
        .size:           8
        .value_kind:     by_value
      - .offset:         16
        .size:           8
        .value_kind:     by_value
      - .offset:         24
        .size:           8
        .value_kind:     by_value
      - .offset:         32
        .size:           8
        .value_kind:     by_value
      - .offset:         40
        .size:           4
        .value_kind:     hidden_block_count_x
      - .offset:         44
        .size:           4
        .value_kind:     hidden_block_count_y
      - .offset:         48
        .size:           4
        .value_kind:     hidden_block_count_z
      - .offset:         52
        .size:           2
        .value_kind:     hidden_group_size_x
      - .offset:         54
        .size:           2
        .value_kind:     hidden_group_size_y
      - .offset:         56
        .size:           2
        .value_kind:     hidden_group_size_z
      - .offset:         58
        .size:           2
        .value_kind:     hidden_remainder_x
      - .offset:         60
        .size:           2
        .value_kind:     hidden_remainder_y
      - .offset:         62
        .size:           2
        .value_kind:     hidden_remainder_z
      - .offset:         80
        .size:           8
        .value_kind:     hidden_global_offset_x
      - .offset:         88
        .size:           8
        .value_kind:     hidden_global_offset_y
      - .offset:         96
        .size:           8
        .value_kind:     hidden_global_offset_z
      - .offset:         104
        .size:           2
        .value_kind:     hidden_grid_dims
    .group_segment_fixed_size: 0
    .kernarg_segment_align: 8
    .kernarg_segment_size: 296
    .language:       OpenCL C
    .language_version:
      - 2
      - 0
    .max_flat_workgroup_size: 1024
    .name:           _Z10initrdata2Pdmmmm
    .private_segment_fixed_size: 0
    .sgpr_count:     20
    .sgpr_spill_count: 0
    .symbol:         _Z10initrdata2Pdmmmm.kd
    .uniform_work_group_size: 1
    .uses_dynamic_stack: false
    .vgpr_count:     13
    .vgpr_spill_count: 0
    .wavefront_size: 64
  - .args:
      - .address_space:  global
        .offset:         0
        .size:           8
        .value_kind:     global_buffer
      - .offset:         8
        .size:           8
        .value_kind:     by_value
      - .offset:         16
        .size:           8
        .value_kind:     by_value
      - .offset:         24
        .size:           8
        .value_kind:     by_value
      - .offset:         32
        .size:           8
        .value_kind:     by_value
      - .offset:         40
        .size:           8
        .value_kind:     by_value
      - .offset:         48
        .size:           8
        .value_kind:     by_value
      - .offset:         56
        .size:           4
        .value_kind:     hidden_block_count_x
      - .offset:         60
        .size:           4
        .value_kind:     hidden_block_count_y
      - .offset:         64
        .size:           4
        .value_kind:     hidden_block_count_z
      - .offset:         68
        .size:           2
        .value_kind:     hidden_group_size_x
      - .offset:         70
        .size:           2
        .value_kind:     hidden_group_size_y
      - .offset:         72
        .size:           2
        .value_kind:     hidden_group_size_z
      - .offset:         74
        .size:           2
        .value_kind:     hidden_remainder_x
      - .offset:         76
        .size:           2
        .value_kind:     hidden_remainder_y
      - .offset:         78
        .size:           2
        .value_kind:     hidden_remainder_z
      - .offset:         96
        .size:           8
        .value_kind:     hidden_global_offset_x
      - .offset:         104
        .size:           8
        .value_kind:     hidden_global_offset_y
      - .offset:         112
        .size:           8
        .value_kind:     hidden_global_offset_z
      - .offset:         120
        .size:           2
        .value_kind:     hidden_grid_dims
    .group_segment_fixed_size: 0
    .kernarg_segment_align: 8
    .kernarg_segment_size: 312
    .language:       OpenCL C
    .language_version:
      - 2
      - 0
    .max_flat_workgroup_size: 1024
    .name:           _Z10initrdata3Pdmmmmmm
    .private_segment_fixed_size: 0
    .sgpr_count:     32
    .sgpr_spill_count: 0
    .symbol:         _Z10initrdata3Pdmmmmmm.kd
    .uniform_work_group_size: 1
    .uses_dynamic_stack: false
    .vgpr_count:     36
    .vgpr_spill_count: 0
    .wavefront_size: 64
  - .args:
      - .address_space:  global
        .offset:         0
        .size:           8
        .value_kind:     global_buffer
      - .offset:         8
        .size:           8
        .value_kind:     by_value
      - .offset:         16
        .size:           8
        .value_kind:     by_value
      - .offset:         24
        .size:           4
        .value_kind:     hidden_block_count_x
      - .offset:         28
        .size:           4
        .value_kind:     hidden_block_count_y
      - .offset:         32
        .size:           4
        .value_kind:     hidden_block_count_z
      - .offset:         36
        .size:           2
        .value_kind:     hidden_group_size_x
      - .offset:         38
        .size:           2
        .value_kind:     hidden_group_size_y
      - .offset:         40
        .size:           2
        .value_kind:     hidden_group_size_z
      - .offset:         42
        .size:           2
        .value_kind:     hidden_remainder_x
      - .offset:         44
        .size:           2
        .value_kind:     hidden_remainder_y
      - .offset:         46
        .size:           2
        .value_kind:     hidden_remainder_z
      - .offset:         64
        .size:           8
        .value_kind:     hidden_global_offset_x
      - .offset:         72
        .size:           8
        .value_kind:     hidden_global_offset_y
      - .offset:         80
        .size:           8
        .value_kind:     hidden_global_offset_z
      - .offset:         88
        .size:           2
        .value_kind:     hidden_grid_dims
    .group_segment_fixed_size: 0
    .kernarg_segment_align: 8
    .kernarg_segment_size: 280
    .language:       OpenCL C
    .language_version:
      - 2
      - 0
    .max_flat_workgroup_size: 1024
    .name:           _Z10initcdata1P15HIP_vector_typeIdLj2EEmm
    .private_segment_fixed_size: 0
    .sgpr_count:     12
    .sgpr_spill_count: 0
    .symbol:         _Z10initcdata1P15HIP_vector_typeIdLj2EEmm.kd
    .uniform_work_group_size: 1
    .uses_dynamic_stack: false
    .vgpr_count:     9
    .vgpr_spill_count: 0
    .wavefront_size: 64
  - .args:
      - .address_space:  global
        .offset:         0
        .size:           8
        .value_kind:     global_buffer
      - .offset:         8
        .size:           8
        .value_kind:     by_value
      - .offset:         16
        .size:           8
        .value_kind:     by_value
      - .offset:         24
        .size:           8
        .value_kind:     by_value
      - .offset:         32
        .size:           8
        .value_kind:     by_value
      - .offset:         40
        .size:           4
        .value_kind:     hidden_block_count_x
      - .offset:         44
        .size:           4
        .value_kind:     hidden_block_count_y
      - .offset:         48
        .size:           4
        .value_kind:     hidden_block_count_z
      - .offset:         52
        .size:           2
        .value_kind:     hidden_group_size_x
      - .offset:         54
        .size:           2
        .value_kind:     hidden_group_size_y
      - .offset:         56
        .size:           2
        .value_kind:     hidden_group_size_z
      - .offset:         58
        .size:           2
        .value_kind:     hidden_remainder_x
      - .offset:         60
        .size:           2
        .value_kind:     hidden_remainder_y
      - .offset:         62
        .size:           2
        .value_kind:     hidden_remainder_z
      - .offset:         80
        .size:           8
        .value_kind:     hidden_global_offset_x
      - .offset:         88
        .size:           8
        .value_kind:     hidden_global_offset_y
      - .offset:         96
        .size:           8
        .value_kind:     hidden_global_offset_z
      - .offset:         104
        .size:           2
        .value_kind:     hidden_grid_dims
    .group_segment_fixed_size: 0
    .kernarg_segment_align: 8
    .kernarg_segment_size: 296
    .language:       OpenCL C
    .language_version:
      - 2
      - 0
    .max_flat_workgroup_size: 1024
    .name:           _Z10initcdata2P15HIP_vector_typeIdLj2EEmmmm
    .private_segment_fixed_size: 0
    .sgpr_count:     20
    .sgpr_spill_count: 0
    .symbol:         _Z10initcdata2P15HIP_vector_typeIdLj2EEmmmm.kd
    .uniform_work_group_size: 1
    .uses_dynamic_stack: false
    .vgpr_count:     10
    .vgpr_spill_count: 0
    .wavefront_size: 64
  - .args:
      - .address_space:  global
        .offset:         0
        .size:           8
        .value_kind:     global_buffer
      - .offset:         8
        .size:           8
        .value_kind:     by_value
      - .offset:         16
        .size:           8
        .value_kind:     by_value
      - .offset:         24
        .size:           8
        .value_kind:     by_value
      - .offset:         32
        .size:           8
        .value_kind:     by_value
      - .offset:         40
        .size:           8
        .value_kind:     by_value
      - .offset:         48
        .size:           8
        .value_kind:     by_value
      - .offset:         56
        .size:           4
        .value_kind:     hidden_block_count_x
      - .offset:         60
        .size:           4
        .value_kind:     hidden_block_count_y
      - .offset:         64
        .size:           4
        .value_kind:     hidden_block_count_z
      - .offset:         68
        .size:           2
        .value_kind:     hidden_group_size_x
      - .offset:         70
        .size:           2
        .value_kind:     hidden_group_size_y
      - .offset:         72
        .size:           2
        .value_kind:     hidden_group_size_z
      - .offset:         74
        .size:           2
        .value_kind:     hidden_remainder_x
      - .offset:         76
        .size:           2
        .value_kind:     hidden_remainder_y
      - .offset:         78
        .size:           2
        .value_kind:     hidden_remainder_z
      - .offset:         96
        .size:           8
        .value_kind:     hidden_global_offset_x
      - .offset:         104
        .size:           8
        .value_kind:     hidden_global_offset_y
      - .offset:         112
        .size:           8
        .value_kind:     hidden_global_offset_z
      - .offset:         120
        .size:           2
        .value_kind:     hidden_grid_dims
    .group_segment_fixed_size: 0
    .kernarg_segment_align: 8
    .kernarg_segment_size: 312
    .language:       OpenCL C
    .language_version:
      - 2
      - 0
    .max_flat_workgroup_size: 1024
    .name:           _Z10initcdata3P15HIP_vector_typeIdLj2EEmmmmmm
    .private_segment_fixed_size: 0
    .sgpr_count:     28
    .sgpr_spill_count: 0
    .symbol:         _Z10initcdata3P15HIP_vector_typeIdLj2EEmmmmmm.kd
    .uniform_work_group_size: 1
    .uses_dynamic_stack: false
    .vgpr_count:     14
    .vgpr_spill_count: 0
    .wavefront_size: 64
  - .args:
      - .address_space:  global
        .offset:         0
        .size:           8
        .value_kind:     global_buffer
      - .offset:         8
        .size:           8
        .value_kind:     by_value
      - .offset:         16
        .size:           8
        .value_kind:     by_value
      - .offset:         24
        .size:           8
        .value_kind:     by_value
      - .offset:         32
        .size:           8
        .value_kind:     by_value
      - .offset:         40
        .size:           1
        .value_kind:     by_value
      - .offset:         48
        .size:           4
        .value_kind:     hidden_block_count_x
      - .offset:         52
        .size:           4
        .value_kind:     hidden_block_count_y
      - .offset:         56
        .size:           4
        .value_kind:     hidden_block_count_z
      - .offset:         60
        .size:           2
        .value_kind:     hidden_group_size_x
      - .offset:         62
        .size:           2
        .value_kind:     hidden_group_size_y
      - .offset:         64
        .size:           2
        .value_kind:     hidden_group_size_z
      - .offset:         66
        .size:           2
        .value_kind:     hidden_remainder_x
      - .offset:         68
        .size:           2
        .value_kind:     hidden_remainder_y
      - .offset:         70
        .size:           2
        .value_kind:     hidden_remainder_z
      - .offset:         88
        .size:           8
        .value_kind:     hidden_global_offset_x
      - .offset:         96
        .size:           8
        .value_kind:     hidden_global_offset_y
      - .offset:         104
        .size:           8
        .value_kind:     hidden_global_offset_z
      - .offset:         112
        .size:           2
        .value_kind:     hidden_grid_dims
    .group_segment_fixed_size: 0
    .kernarg_segment_align: 8
    .kernarg_segment_size: 304
    .language:       OpenCL C
    .language_version:
      - 2
      - 0
    .max_flat_workgroup_size: 1024
    .name:           _ZL47impose_hermitian_symmetry_interleaved_1D_kernelI15HIP_vector_typeIdLj2EEEvPT_mmmmb
    .private_segment_fixed_size: 0
    .sgpr_count:     20
    .sgpr_spill_count: 0
    .symbol:         _ZL47impose_hermitian_symmetry_interleaved_1D_kernelI15HIP_vector_typeIdLj2EEEvPT_mmmmb.kd
    .uniform_work_group_size: 1
    .uses_dynamic_stack: false
    .vgpr_count:     5
    .vgpr_spill_count: 0
    .wavefront_size: 64
  - .args:
      - .address_space:  global
        .offset:         0
        .size:           8
        .value_kind:     global_buffer
      - .offset:         8
        .size:           8
        .value_kind:     by_value
      - .offset:         16
        .size:           8
        .value_kind:     by_value
      - .offset:         24
        .size:           8
        .value_kind:     by_value
      - .offset:         32
        .size:           8
        .value_kind:     by_value
      - .offset:         40
        .size:           8
        .value_kind:     by_value
      - .offset:         48
        .size:           8
        .value_kind:     by_value
      - .offset:         56
        .size:           8
        .value_kind:     by_value
      - .offset:         64
        .size:           1
        .value_kind:     by_value
      - .offset:         65
        .size:           1
        .value_kind:     by_value
      - .offset:         72
        .size:           4
        .value_kind:     hidden_block_count_x
      - .offset:         76
        .size:           4
        .value_kind:     hidden_block_count_y
      - .offset:         80
        .size:           4
        .value_kind:     hidden_block_count_z
      - .offset:         84
        .size:           2
        .value_kind:     hidden_group_size_x
      - .offset:         86
        .size:           2
        .value_kind:     hidden_group_size_y
      - .offset:         88
        .size:           2
        .value_kind:     hidden_group_size_z
      - .offset:         90
        .size:           2
        .value_kind:     hidden_remainder_x
      - .offset:         92
        .size:           2
        .value_kind:     hidden_remainder_y
      - .offset:         94
        .size:           2
        .value_kind:     hidden_remainder_z
      - .offset:         112
        .size:           8
        .value_kind:     hidden_global_offset_x
      - .offset:         120
        .size:           8
        .value_kind:     hidden_global_offset_y
      - .offset:         128
        .size:           8
        .value_kind:     hidden_global_offset_z
      - .offset:         136
        .size:           2
        .value_kind:     hidden_grid_dims
    .group_segment_fixed_size: 0
    .kernarg_segment_align: 8
    .kernarg_segment_size: 328
    .language:       OpenCL C
    .language_version:
      - 2
      - 0
    .max_flat_workgroup_size: 1024
    .name:           _ZL47impose_hermitian_symmetry_interleaved_2D_kernelI15HIP_vector_typeIdLj2EEEvPT_mmmmmmmbb
    .private_segment_fixed_size: 0
    .sgpr_count:     28
    .sgpr_spill_count: 0
    .symbol:         _ZL47impose_hermitian_symmetry_interleaved_2D_kernelI15HIP_vector_typeIdLj2EEEvPT_mmmmmmmbb.kd
    .uniform_work_group_size: 1
    .uses_dynamic_stack: false
    .vgpr_count:     13
    .vgpr_spill_count: 0
    .wavefront_size: 64
  - .args:
      - .address_space:  global
        .offset:         0
        .size:           8
        .value_kind:     global_buffer
      - .offset:         8
        .size:           8
        .value_kind:     by_value
      - .offset:         16
        .size:           8
        .value_kind:     by_value
      - .offset:         24
        .size:           8
        .value_kind:     by_value
      - .offset:         32
        .size:           8
        .value_kind:     by_value
      - .offset:         40
        .size:           8
        .value_kind:     by_value
      - .offset:         48
        .size:           8
        .value_kind:     by_value
      - .offset:         56
        .size:           8
        .value_kind:     by_value
      - .offset:         64
        .size:           8
        .value_kind:     by_value
      - .offset:         72
        .size:           8
        .value_kind:     by_value
      - .offset:         80
        .size:           8
        .value_kind:     by_value
      - .offset:         88
        .size:           8
        .value_kind:     by_value
      - .offset:         96
        .size:           1
        .value_kind:     by_value
      - .offset:         97
        .size:           1
        .value_kind:     by_value
      - .offset:         98
        .size:           1
        .value_kind:     by_value
      - .offset:         104
        .size:           4
        .value_kind:     hidden_block_count_x
      - .offset:         108
        .size:           4
        .value_kind:     hidden_block_count_y
      - .offset:         112
        .size:           4
        .value_kind:     hidden_block_count_z
      - .offset:         116
        .size:           2
        .value_kind:     hidden_group_size_x
      - .offset:         118
        .size:           2
        .value_kind:     hidden_group_size_y
      - .offset:         120
        .size:           2
        .value_kind:     hidden_group_size_z
      - .offset:         122
        .size:           2
        .value_kind:     hidden_remainder_x
      - .offset:         124
        .size:           2
        .value_kind:     hidden_remainder_y
      - .offset:         126
        .size:           2
        .value_kind:     hidden_remainder_z
      - .offset:         144
        .size:           8
        .value_kind:     hidden_global_offset_x
      - .offset:         152
        .size:           8
        .value_kind:     hidden_global_offset_y
      - .offset:         160
        .size:           8
        .value_kind:     hidden_global_offset_z
      - .offset:         168
        .size:           2
        .value_kind:     hidden_grid_dims
    .group_segment_fixed_size: 0
    .kernarg_segment_align: 8
    .kernarg_segment_size: 360
    .language:       OpenCL C
    .language_version:
      - 2
      - 0
    .max_flat_workgroup_size: 1024
    .name:           _ZL47impose_hermitian_symmetry_interleaved_3D_kernelI15HIP_vector_typeIdLj2EEEvPT_mmmmmmmmmmmbbb
    .private_segment_fixed_size: 0
    .sgpr_count:     48
    .sgpr_spill_count: 0
    .symbol:         _ZL47impose_hermitian_symmetry_interleaved_3D_kernelI15HIP_vector_typeIdLj2EEEvPT_mmmmmmmmmmmbbb.kd
    .uniform_work_group_size: 1
    .uses_dynamic_stack: false
    .vgpr_count:     20
    .vgpr_spill_count: 0
    .wavefront_size: 64
amdhsa.target:   amdgcn-amd-amdhsa--gfx906
amdhsa.version:
  - 1
  - 2
...

	.end_amdgpu_metadata
